;; amdgpu-corpus repo=ROCm/aiter kind=harvested arch=n/a opt=n/a

/root/src/amdgpu-assembly/repos/ROCm__aiter/hsa/gfx942/pa/pa_bf16_pertokenInt8_gqa8_1tg_4w_mtp_msk0.co:	file format elf64-amdgpu

Disassembly of section .text:

0000000000002200 <_ZN5aiter41pa_bf16_pertokenInt8_gqa8_1tg_4w_mtp_msk0E>:
	s_and_b32 s1, s1, 0xffff                                   // 000000002200: 8601FF01 0000FFFF
	s_load_dwordx2 s[8:9], s[0:1], 0x0                         // 000000002208: C0060200 00000000
	s_load_dwordx2 s[12:13], s[0:1], 0x10                      // 000000002210: C0060300 00000010
	s_load_dwordx2 s[16:17], s[0:1], 0x20                      // 000000002218: C0060400 00000020
	s_load_dwordx2 s[20:21], s[0:1], 0x30                      // 000000002220: C0060500 00000030
	s_load_dwordx2 s[24:25], s[0:1], 0x40                      // 000000002228: C0060600 00000040
	s_load_dwordx2 s[28:29], s[0:1], 0x50                      // 000000002230: C0060700 00000050
	s_load_dwordx2 s[32:33], s[0:1], 0x60                      // 000000002238: C0060800 00000060
	s_load_dwordx2 s[36:37], s[0:1], 0x70                      // 000000002240: C0060900 00000070
	s_load_dword s64, s[0:1], 0x80                             // 000000002248: C0021000 00000080
	s_load_dword s65, s[0:1], 0x90                             // 000000002250: C0021040 00000090
	s_load_dword s66, s[0:1], 0xa0                             // 000000002258: C0021080 000000A0
	s_load_dword s74, s[0:1], 0xb0                             // 000000002260: C0021280 000000B0
	s_load_dword s68, s[0:1], 0xc0                             // 000000002268: C0021100 000000C0
	s_load_dword s69, s[0:1], 0xd0                             // 000000002270: C0021140 000000D0
	s_load_dword s77, s[0:1], 0xe0                             // 000000002278: C0021340 000000E0
	s_load_dwordx2 s[80:81], s[0:1], 0xf0                      // 000000002280: C0061400 000000F0
	v_lshrrev_b32_e32 v1, 10, v0                               // 000000002288: 2002008A
	v_lshrrev_b32_e32 v2, 10, v1                               // 00000000228C: 2004028A
	v_and_b32_e32 v2, 0x3ff, v2                                // 000000002290: 260404FF 000003FF
	v_and_b32_e32 v1, 0x3ff, v1                                // 000000002298: 260202FF 000003FF
	v_and_b32_e32 v0, 0x3ff, v0                                // 0000000022A0: 260000FF 000003FF
	v_lshrrev_b32_e32 v3, 6, v0                                // 0000000022A8: 20060086
	v_and_b32_e32 v0, 63, v0                                   // 0000000022AC: 260000BF
	s_mov_b32 s2, s2                                           // 0000000022B0: BE820002
	s_mov_b32 s3, s3                                           // 0000000022B4: BE830003
	s_mov_b32 s4, s4                                           // 0000000022B8: BE840004
	v_readfirstlane_b32 s7, v3                                 // 0000000022BC: 7E0E0503
	s_waitcnt lgkmcnt(0)                                       // 0000000022C0: BF8CC07F
	s_mul_i32 s67, 0x100, s77                                  // 0000000022C4: 92434DFF 00000100
	s_mul_i32 s76, 0x100, s77                                  // 0000000022CC: 924C4DFF 00000100
	s_mul_i32 s75, s66, s76                                    // 0000000022D4: 924B4C42
	s_mul_i32 s60, s3, 4                                       // 0000000022D8: 923C8403
	s_and_b32 s29, s29, 0xffff                                 // 0000000022DC: 861DFF1D 0000FFFF
	s_add_u32 s28, s60, s28                                    // 0000000022E4: 801C1C3C
	s_addc_u32 s29, 0, s29                                     // 0000000022E8: 821D1D80
	s_load_dword s72, s[28:29], 0x0                            // 0000000022EC: C002120E 00000000
	s_mul_i32 s60, s3, 4                                       // 0000000022F4: 923C8403
	s_and_b32 s81, s81, 0xffff                                 // 0000000022F8: 8651FF51 0000FFFF
	s_add_u32 s80, s60, s80                                    // 000000002300: 8050503C
	s_addc_u32 s81, 0, s81                                     // 000000002304: 82515180
	s_load_dword s84, s[80:81], 0x0                            // 000000002308: C0021528 00000000
	s_load_dword s85, s[80:81], 0x4                            // 000000002310: C0021568 00000004
	s_mov_b32 s10, s76                                         // 000000002318: BE8A004C
	s_mov_b32 s14, s67                                         // 00000000231C: BE8E0043
	s_mul_i32 s60, 4, s65                                      // 000000002320: 923C4184
	s_mov_b32 s26, s60                                         // 000000002324: BE9A003C
	s_mov_b32 s34, 0x80000000                                  // 000000002328: BEA200FF 80000000
	s_mov_b32 s38, 0x80000000                                  // 000000002330: BEA600FF 80000000
	s_mov_b32 s18, 0x80000000                                  // 000000002338: BE9200FF 80000000
	s_mov_b32 s22, 0x80000000                                  // 000000002340: BE9600FF 80000000
	s_mov_b32 s11, 0x20000                                     // 000000002348: BE8B00FF 00020000
	s_mov_b32 s15, 0x20000                                     // 000000002350: BE8F00FF 00020000
	s_mov_b32 s19, 0x20000                                     // 000000002358: BE9300FF 00020000
	s_mov_b32 s23, 0x20000                                     // 000000002360: BE9700FF 00020000
	s_mov_b32 s27, 0x20000                                     // 000000002368: BE9B00FF 00020000
	s_mov_b32 s35, 0x20000                                     // 000000002370: BEA300FF 00020000
	s_mov_b32 s39, 0x20000                                     // 000000002378: BEA700FF 00020000
	s_and_b32 s9, s9, 0xffff                                   // 000000002380: 8609FF09 0000FFFF
	s_and_b32 s13, s13, 0xffff                                 // 000000002388: 860DFF0D 0000FFFF
	s_and_b32 s17, s17, 0xffff                                 // 000000002390: 8611FF11 0000FFFF
	s_and_b32 s21, s21, 0xffff                                 // 000000002398: 8615FF15 0000FFFF
	s_and_b32 s25, s25, 0xffff                                 // 0000000023A0: 8619FF19 0000FFFF
	s_and_b32 s33, s33, 0xffff                                 // 0000000023A8: 8621FF21 0000FFFF
	s_and_b32 s37, s37, 0xffff                                 // 0000000023B0: 8625FF25 0000FFFF
	s_or_b32 s9, s9, 0x40000                                   // 0000000023B8: 8709FF09 00040000
	s_or_b32 s13, s13, 0x40000                                 // 0000000023C0: 870DFF0D 00040000
	s_or_b32 s17, s17, 0x40000                                 // 0000000023C8: 8711FF11 00040000
	s_or_b32 s21, s21, 0x40000                                 // 0000000023D0: 8715FF15 00040000
	s_or_b32 s25, s25, 0x40000                                 // 0000000023D8: 8719FF19 00040000
	s_or_b32 s33, s33, 0x40000                                 // 0000000023E0: 8721FF21 00040000
	s_or_b32 s37, s37, 0x40000                                 // 0000000023E8: 8725FF25 00040000
	v_accvgpr_write_b32 a127, 0                                // 0000000023F0: D3D9407F 18000080
	v_mov_b32_e32 v255, 0                                      // 0000000023F8: 7FFE0280
	s_mov_b32 s88, 0                                           // 0000000023FC: BED80080
	s_waitcnt lgkmcnt(0)                                       // 000000002400: BF8CC07F
	s_sub_u32 s86, s85, s84                                    // 000000002404: 80D65455
	s_mov_b32 s60, 2                                           // 000000002408: BEBC0082
	s_cmp_eq_i32 s60, s86                                      // 00000000240C: BF00563C
	s_cbranch_scc1 label_0E73                                  // 000000002410: BF850DEE
	s_mov_b32 s60, 3                                           // 000000002414: BEBC0083
	s_cmp_eq_i32 s60, s86                                      // 000000002418: BF00563C
	s_cbranch_scc1 label_2024                                  // 00000000241C: BF851F9C
	s_mov_b32 s60, 4                                           // 000000002420: BEBC0084
	s_cmp_eq_i32 s60, s86                                      // 000000002424: BF00563C
	s_cbranch_scc1 label_2026                                  // 000000002428: BF851F9B
	s_mul_i32 s60, s3, s65                                     // 00000000242C: 923C4103
	s_mul_i32 s60, s60, 4                                      // 000000002430: 923C843C
	s_add_u32 s24, s60, s24                                    // 000000002434: 8018183C
	s_addc_u32 s25, 0, s25                                     // 000000002438: 82191980
	s_mov_b32 s56, 64                                          // 00000000243C: BEB800C0
	s_add_u32 s73, s72, 15                                     // 000000002440: 80498F48
	s_lshr_b32 s73, s73, 4                                     // 000000002444: 8F498449
	s_mul_i32 s60, s73, 4                                      // 000000002448: 923C8449
	s_mov_b32 s26, s60                                         // 00000000244C: BE9A003C
	v_and_b32_e32 v42, 3, v0                                   // 000000002450: 26540083
	v_cmp_eq_u32_e64 s[60:61], 0, v42                          // 000000002454: D0CA003C 00025480
	v_and_b32_e32 v41, 12, v0                                  // 00000000245C: 2652008C
	v_add_u32_e32 v1, s7, v41                                  // 000000002460: 68025207
	v_cndmask_b32_e64 v1, 0, v1, s[60:61]                      // 000000002464: D1000001 00F20280
	v_and_b32_e32 v42, 3, v0                                   // 00000000246C: 26540083
	v_cmp_eq_u32_e64 s[60:61], 1, v42                          // 000000002470: D0CA003C 00025481
	v_lshrrev_b32_e32 v41, 4, v0                               // 000000002478: 20520084
	v_and_b32_e32 v42, 12, v0                                  // 00000000247C: 2654008C
	v_add_u32_e32 v41, v42, v41                                // 000000002480: 6852532A
	v_cndmask_b32_e64 v41, 0, v41, s[60:61]                    // 000000002484: D1000029 00F25280
	v_add_u32_e32 v1, v1, v41                                  // 00000000248C: 68025301
	v_lshlrev_b32_e32 v1, 2, v1                                // 000000002490: 24020282
	buffer_load_dword v19, v1, s[24:27], 0 offen               // 000000002494: E0501000 80061301
	v_add_u32_e32 v1, s56, v1                                  // 00000000249C: 68020238
	buffer_load_dword v20, v1, s[24:27], 0 offen               // 0000000024A0: E0501000 80061401
	s_cmp_le_u32 s73, 32                                       // 0000000024A8: BF0BA049
	s_cselect_b32 s56, 0, s56                                  // 0000000024AC: 85383880
	s_mul_i32 s60, s2, s67                                     // 0000000024B0: 923C4302
	s_mul_i32 s61, s84, s74                                    // 0000000024B4: 923D4A54
	s_add_u32 s60, s60, s61                                    // 0000000024B8: 803C3D3C
	s_add_u32 s12, s60, s12                                    // 0000000024BC: 800C0C3C
	s_addc_u32 s13, 0, s13                                     // 0000000024C0: 820D0D80
	s_mul_i32 s60, s7, 0x108                                   // 0000000024C4: 923CFF07 00000108
	s_add_u32 m0, 0, s60                                       // 0000000024CC: 807C3C80
	s_mul_i32 s60, s7, 0x100                                   // 0000000024D0: 923CFF07 00000100
	v_lshlrev_b32_e32 v41, 2, v0                               // 0000000024D8: 24520082
	v_add_u32_e64 v41, v41, s60                                // 0000000024DC: D1340029 00007929
	buffer_load_dword v41, s[12:15], 0 offen lds               // 0000000024E4: E0511000 80030029
	s_mul_i32 s60, 4, 0x108                                    // 0000000024EC: 923CFF84 00000108
	s_add_u32 m0, m0, s60                                      // 0000000024F4: 807C3C7C
	v_add_u32_e32 v41, 0x400, v41                              // 0000000024F8: 685252FF 00000400
	buffer_load_dword v41, s[12:15], 0 offen lds               // 000000002500: E0511000 80030029
	s_mul_i32 s60, 4, 0x108                                    // 000000002508: 923CFF84 00000108
	s_add_u32 m0, m0, s60                                      // 000000002510: 807C3C7C
	v_add_u32_e32 v41, 0x400, v41                              // 000000002514: 685252FF 00000400
	s_mul_i32 s60, s7, 0x108                                   // 00000000251C: 923CFF07 00000108
	v_lshlrev_b32_e32 v41, 2, v0                               // 000000002524: 24520082
	v_add_u32_e64 v41, v41, s60                                // 000000002528: D1340029 00007929
	v_mov_b32_e32 v42, 0                                       // 000000002530: 7E540280
	ds_write_b32 v41, v42 offset:2112                          // 000000002534: D81A0840 00002A29
	ds_write_b32 v41, v42 offset:3168                          // 00000000253C: D81A0C60 00002A29
	v_lshrrev_b32_e32 v41, 4, v0                               // 000000002544: 20520084
	v_lshlrev_b32_e32 v41, 2, v41                              // 000000002548: 24525282
	v_and_b32_e32 v42, 3, v0                                   // 00000000254C: 26540083
	v_add_u32_e32 v41, v42, v41                                // 000000002550: 6852532A
	v_lshlrev_b32_e32 v74, 2, v41                              // 000000002554: 24945282
	v_mov_b32_e32 v75, v74                                     // 000000002558: 7E96034A
	s_mul_i32 s60, s2, 64                                      // 00000000255C: 923CC002
	s_add_u32 s32, s60, s32                                    // 000000002560: 8020203C
	s_addc_u32 s33, 0, s33                                     // 000000002564: 82212180
	s_add_u32 s36, s60, s36                                    // 000000002568: 8024243C
	s_addc_u32 s37, 0, s37                                     // 00000000256C: 82252580
	s_mul_i32 s60, s2, s76                                     // 000000002570: 923C4C02
	s_mul_i32 s61, s84, s75                                    // 000000002574: 923D4B54
	s_add_u32 s60, s60, s61                                    // 000000002578: 803C3D3C
	s_add_u32 s8, s60, s8                                      // 00000000257C: 8008083C
	s_addc_u32 s9, 0, s9                                       // 000000002580: 82090980
	s_mul_i32 s60, s7, 0x100                                   // 000000002584: 923CFF07 00000100
	v_lshlrev_b32_e32 v8, 2, v0                                // 00000000258C: 24100082
	v_add_u32_e64 v8, v8, s60                                  // 000000002590: D1340008 00007908
	s_mov_b32 s70, 0                                           // 000000002598: BEC60080
	s_and_b32 s71, s72, 0xffffff00                             // 00000000259C: 8647FF48 FFFFFF00
	s_mov_b32 s42, 0xff00ff00                                  // 0000000025A4: BEAA00FF FF00FF00
	s_mov_b32 s43, 0xff00ff00                                  // 0000000025AC: BEAB00FF FF00FF00
	s_mov_b32 s44, 0xf0f0f0f0                                  // 0000000025B4: BEAC00FF F0F0F0F0
	s_mov_b32 s45, 0xf0f0f0f0                                  // 0000000025BC: BEAD00FF F0F0F0F0
	v_mul_i32_i24_e64 v78, 64, s66                             // 0000000025C4: D106004E 000084C0
	v_mov_b32_e32 v68, s68                                     // 0000000025CC: 7E880244
	v_mov_b32_e32 v9, -1                                       // 0000000025D0: 7E1202C1
	s_mov_b32 s52, 0x7060302                                   // 0000000025D4: BEB400FF 07060302
	s_mov_b32 s53, 0x400                                       // 0000000025DC: BEB500FF 00000400
	s_mov_b32 s54, 0x40100                                     // 0000000025E4: BEB600FF 00040100
	s_mov_b32 s55, 0x4020100                                   // 0000000025EC: BEB700FF 04020100
	v_mov_b32_dpp v9, v9 row_shl:8 row_mask:0xf bank_mask:0xf bound_ctrl:1// 0000000025F4: 7E1202FA FF090809
	s_mov_b32 s6, 0x3fb8aa3b                                   // 0000000025FC: BE8600FF 3FB8AA3B
	v_mov_b32_e32 v14, 0xff800000                              // 000000002604: 7E1C02FF FF800000
	v_mov_b32_e32 v69, 0xff800000                              // 00000000260C: 7E8A02FF FF800000
	v_mov_b32_e32 v63, 0                                       // 000000002614: 7E7E0280
	v_mov_b32_e32 v47, 0                                       // 000000002618: 7E5E0280
	v_mov_b32_e32 v58, 0                                       // 00000000261C: 7E740280
	v_mov_b32_e32 v22, 0xffff0000                              // 000000002620: 7E2C02FF FFFF0000
	v_mov_b32_e32 v23, 0x7fff0000                              // 000000002628: 7E2E02FF 7FFF0000
	v_mov_b32_e32 v24, 0x7fff                                  // 000000002630: 7E3002FF 00007FFF
	v_add_u32_e32 v1, s56, v1                                  // 000000002638: 68020238
	v_and_b32_e32 v10, 15, v0                                  // 00000000263C: 2614008F
	v_lshlrev_b32_e32 v10, 2, v10                              // 000000002640: 24141482
	v_lshlrev_b32_e32 v11, 2, v0                               // 000000002644: 24160082
	s_mul_i32 s60, 0x100, s7                                   // 000000002648: 923C07FF 00000100
	v_add_u32_e32 v11, s60, v11                                // 000000002650: 6816163C
	v_lshrrev_b32_e32 v41, 4, v0                               // 000000002654: 20520084
	v_lshlrev_b32_e32 v42, 6, v41                              // 000000002658: 24545286
	v_and_b32_e32 v41, 15, v0                                  // 00000000265C: 2652008F
	v_lshlrev_b32_e32 v41, 1, v41                              // 000000002660: 24525281
	v_add_u32_e32 v42, v41, v42                                // 000000002664: 68545529
	v_lshlrev_b32_e32 v12, 2, v42                              // 000000002668: 24185482
	v_lshrrev_b32_e32 v41, 5, v0                               // 00000000266C: 20520085
	v_lshlrev_b32_e32 v42, 5, v41                              // 000000002670: 24545285
	v_and_b32_e32 v41, 31, v0                                  // 000000002674: 2652009F
	v_lshrrev_b32_e32 v43, 4, v41                              // 000000002678: 20565284
	v_add_u32_e32 v42, v43, v42                                // 00000000267C: 6854552B
	v_and_b32_e32 v41, 15, v0                                  // 000000002680: 2652008F
	v_lshlrev_b32_e32 v41, 1, v41                              // 000000002684: 24525281
	v_add_u32_e32 v42, v41, v42                                // 000000002688: 68545529
	v_lshlrev_b32_e32 v41, 2, v42                              // 00000000268C: 24525482
	s_mul_i32 s60, 0x100, s7                                   // 000000002690: 923C07FF 00000100
	v_add_u32_e64 v13, v41, s60                                // 000000002698: D134000D 00007929
	v_lshlrev_b32_e32 v6, 4, v0                                // 0000000026A0: 240C0084
	s_mul_i32 s60, s2, s69                                     // 0000000026A4: 923C4502
	s_add_u32 s16, s60, s16                                    // 0000000026A8: 8010103C
	s_addc_u32 s17, 0, s17                                     // 0000000026AC: 82111180
	v_and_b32_e32 v41, 15, v0                                  // 0000000026B0: 2652008F
	v_lshlrev_b32_e32 v7, 4, v41                               // 0000000026B4: 240E5284
	s_mul_i32 s61, s2, s69                                     // 0000000026B8: 923D4502
	s_mul_i32 s60, s7, 0x100                                   // 0000000026BC: 923CFF07 00000100
	s_add_u32 s60, s60, s61                                    // 0000000026C4: 803C3D3C
	s_add_u32 s20, s60, s20                                    // 0000000026C8: 8014143C
	s_addc_u32 s21, 0, s21                                     // 0000000026CC: 82151580
	s_waitcnt vmcnt(2)                                         // 0000000026D0: BF8C0F72
	v_mul_u32_u24_dpp v41, v19, v68 row_newbcast:0 row_mask:0xf bank_mask:0xf// 0000000026D4: 105288FA FF015013
	v_mul_u32_u24_dpp v42, v19, v68 row_newbcast:4 row_mask:0xf bank_mask:0xf// 0000000026DC: 105488FA FF015413
	v_mul_u32_u24_dpp v43, v19, v68 row_newbcast:8 row_mask:0xf bank_mask:0xf// 0000000026E4: 105688FA FF015813
	v_mul_u32_u24_dpp v44, v19, v68 row_newbcast:12 row_mask:0xf bank_mask:0xf// 0000000026EC: 105888FA FF015C13
	v_add_u32_e32 v25, v41, v6                                 // 0000000026F4: 68320D29
	v_add_u32_e32 v26, v42, v6                                 // 0000000026F8: 68340D2A
	v_add_u32_e32 v27, v43, v6                                 // 0000000026FC: 68360D2B
	v_add_u32_e32 v28, v44, v6                                 // 000000002700: 68380D2C
	v_mul_u32_u24_dpp v41, v19, v68 row_newbcast:1 row_mask:0xf bank_mask:0xf// 000000002704: 105288FA FF015113
	v_mul_u32_u24_dpp v42, v19, v68 row_newbcast:5 row_mask:0xf bank_mask:0xf// 00000000270C: 105488FA FF015513
	v_mul_u32_u24_dpp v43, v19, v68 row_newbcast:9 row_mask:0xf bank_mask:0xf// 000000002714: 105688FA FF015913
	v_mul_u32_u24_dpp v44, v19, v68 row_newbcast:13 row_mask:0xf bank_mask:0xf// 00000000271C: 105888FA FF015D13
	v_add_u32_e32 v33, v41, v7                                 // 000000002724: 68420F29
	v_add_u32_e32 v34, v42, v7                                 // 000000002728: 68440F2A
	v_add_u32_e32 v35, v43, v7                                 // 00000000272C: 68460F2B
	v_add_u32_e32 v36, v44, v7                                 // 000000002730: 68480F2C
	v_mul_u32_u24_dpp v41, v19, v78 quad_perm:[0,0,0,0] row_mask:0xf bank_mask:0xf// 000000002734: 10529CFA FF000013
	v_add_u32_e32 v2, v41, v74                                 // 00000000273C: 68049529
	v_mul_u32_u24_dpp v41, v19, v78 quad_perm:[0,0,0,0] row_mask:0xf bank_mask:0xf// 000000002740: 10529CFA FF000013
	v_add_u32_e32 v70, v41, v75                                // 000000002748: 688C9729
	buffer_load_dword v52, v2, s[32:35], 0 offen               // 00000000274C: E0501000 80083402
	buffer_load_dwordx4 a[0:3], v25, s[16:19], 0 offen         // 000000002754: E05C1000 80840019
	buffer_load_dwordx4 a[4:7], v25, s[16:19], 0 offen offset:1024// 00000000275C: E05C1400 80840419
	buffer_load_dwordx4 a[8:11], v26, s[16:19], 0 offen        // 000000002764: E05C1000 8084081A
	buffer_load_dwordx4 a[12:15], v26, s[16:19], 0 offen offset:1024// 00000000276C: E05C1400 80840C1A
	buffer_load_dwordx4 a[16:19], v27, s[16:19], 0 offen       // 000000002774: E05C1000 8084101B
	buffer_load_dwordx4 a[20:23], v27, s[16:19], 0 offen offset:1024// 00000000277C: E05C1400 8084141B
	buffer_load_dwordx4 a[24:27], v28, s[16:19], 0 offen       // 000000002784: E05C1000 8084181C
	buffer_load_dwordx4 a[28:31], v28, s[16:19], 0 offen offset:1024// 00000000278C: E05C1400 80841C1C
	buffer_load_dword v72, v70, s[36:39], 0 offen              // 000000002794: E0501000 80094846
	buffer_load_dwordx4 a[64:67], v33, s[20:23], 0 offen       // 00000000279C: E05C1000 80854021
	buffer_load_dwordx4 a[68:71], v34, s[20:23], 0 offen       // 0000000027A4: E05C1000 80854422
	buffer_load_dwordx4 a[72:75], v35, s[20:23], 0 offen       // 0000000027AC: E05C1000 80854823
	buffer_load_dwordx4 a[76:79], v36, s[20:23], 0 offen       // 0000000027B4: E05C1000 80854C24
	buffer_load_dwordx4 a[80:83], v33, s[20:23], 0 offen offset:1024// 0000000027BC: E05C1400 80855021
	buffer_load_dwordx4 a[84:87], v34, s[20:23], 0 offen offset:1024// 0000000027C4: E05C1400 80855422
	buffer_load_dwordx4 a[88:91], v35, s[20:23], 0 offen offset:1024// 0000000027CC: E05C1400 80855823
	buffer_load_dwordx4 a[92:95], v36, s[20:23], 0 offen offset:1024// 0000000027D4: E05C1400 80855C24
	v_lshrrev_b32_e32 v41, 4, v0                               // 0000000027DC: 20520084
	v_lshlrev_b32_e32 v42, 1, v41                              // 0000000027E0: 24545281
	v_and_b32_e32 v41, 15, v0                                  // 0000000027E4: 2652008F
	v_mul_i32_i24_e32 v41, 0x42, v41                           // 0000000027E8: 0C5252FF 00000042
	v_add_u32_e32 v42, v41, v42                                // 0000000027F0: 68545529
	v_lshlrev_b32_e32 v4, 2, v42                               // 0000000027F4: 24085482
	s_mul_i32 s60, s7, 32                                      // 0000000027F8: 923CA007
	v_add_u32_e32 v4, s60, v4                                  // 0000000027FC: 6808083C
	s_waitcnt vmcnt(16) lgkmcnt(0)                             // 000000002800: BF8C4070
	s_barrier                                                  // 000000002804: BF8A0000
	ds_read_b64 v[96:97], v4                                   // 000000002808: D8EC0000 60000004
	ds_read_b64 v[100:101], v4 offset:128                      // 000000002810: D8EC0080 64000004
	s_waitcnt lgkmcnt(0)                                       // 000000002818: BF8CC07F
	v_and_b32_e32 v99, 0xffff0000, v97                         // 00000000281C: 26C6C2FF FFFF0000
	v_lshlrev_b32_e32 v98, 16, v97                             // 000000002824: 24C4C290
	v_and_b32_e32 v97, 0xffff0000, v96                         // 000000002828: 26C2C0FF FFFF0000
	v_lshlrev_b32_e32 v96, 16, v96                             // 000000002830: 24C0C090
	v_and_b32_e32 v103, 0xffff0000, v101                       // 000000002834: 26CECAFF FFFF0000
	v_lshlrev_b32_e32 v102, 16, v101                           // 00000000283C: 24CCCA90
	v_and_b32_e32 v101, 0xffff0000, v100                       // 000000002840: 26CAC8FF FFFF0000
	v_lshlrev_b32_e32 v100, 16, v100                           // 000000002848: 24C8C890
	v_mov_b32_e32 v62, 0x358637bd                              // 00000000284C: 7E7C02FF 358637BD
	v_max3_f32 v62, |v96|, |v97|, v62                          // 000000002854: D1D3033E 04FAC360
	v_max3_f32 v62, |v98|, |v99|, v62                          // 00000000285C: D1D3033E 04FAC762
	v_max3_f32 v62, |v100|, |v101|, v62                        // 000000002864: D1D3033E 04FACB64
	v_max3_f32 v62, |v102|, |v103|, v62                        // 00000000286C: D1D3033E 04FACF66
	ds_write_b32 v11, v62 offset:16896                         // 000000002874: D81A4200 00003E0B
	s_waitcnt lgkmcnt(0)                                       // 00000000287C: BF8CC07F
	s_barrier                                                  // 000000002880: BF8A0000
	ds_read_b32 v80, v10 offset:16896                          // 000000002884: D86C4200 5000000A
	ds_read_b32 v81, v10 offset:16960                          // 00000000288C: D86C4240 5100000A
	ds_read_b32 v82, v10 offset:17024                          // 000000002894: D86C4280 5200000A
	ds_read_b32 v83, v10 offset:17088                          // 00000000289C: D86C42C0 5300000A
	ds_read_b32 v84, v10 offset:17152                          // 0000000028A4: D86C4300 5400000A
	ds_read_b32 v85, v10 offset:17216                          // 0000000028AC: D86C4340 5500000A
	ds_read_b32 v86, v10 offset:17280                          // 0000000028B4: D86C4380 5600000A
	ds_read_b32 v87, v10 offset:17344                          // 0000000028BC: D86C43C0 5700000A
	ds_read_b32 v88, v10 offset:17408                          // 0000000028C4: D86C4400 5800000A
	ds_read_b32 v89, v10 offset:17472                          // 0000000028CC: D86C4440 5900000A
	ds_read_b32 v90, v10 offset:17536                          // 0000000028D4: D86C4480 5A00000A
	ds_read_b32 v91, v10 offset:17600                          // 0000000028DC: D86C44C0 5B00000A
	ds_read_b32 v92, v10 offset:17664                          // 0000000028E4: D86C4500 5C00000A
	ds_read_b32 v93, v10 offset:17728                          // 0000000028EC: D86C4540 5D00000A
	ds_read_b32 v94, v10 offset:17792                          // 0000000028F4: D86C4580 5E00000A
	ds_read_b32 v95, v10 offset:17856                          // 0000000028FC: D86C45C0 5F00000A
	s_waitcnt lgkmcnt(0)                                       // 000000002904: BF8CC07F
	v_max3_f32 v62, |v80|, |v81|, v62                          // 000000002908: D1D3033E 04FAA350
	v_max3_f32 v62, |v82|, |v83|, v62                          // 000000002910: D1D3033E 04FAA752
	v_max3_f32 v62, |v84|, |v85|, v62                          // 000000002918: D1D3033E 04FAAB54
	v_max3_f32 v62, |v86|, |v87|, v62                          // 000000002920: D1D3033E 04FAAF56
	v_max3_f32 v62, |v88|, |v89|, v62                          // 000000002928: D1D3033E 04FAB358
	v_max3_f32 v62, |v90|, |v91|, v62                          // 000000002930: D1D3033E 04FAB75A
	v_max3_f32 v62, |v92|, |v93|, v62                          // 000000002938: D1D3033E 04FABB5C
	v_max3_f32 v62, |v94|, |v95|, v62                          // 000000002940: D1D3033E 04FABF5E
	v_rcp_f32_e32 v62, v62                                     // 000000002948: 7E7C453E
	s_nop 1                                                    // 00000000294C: BF800001
	v_mul_f32_e32 v62, 0x42fe0000, v62                         // 000000002950: 0A7C7CFF 42FE0000
	v_mul_f32_e32 v96, v62, v96                                // 000000002958: 0AC0C13E
	v_mul_f32_e32 v97, v62, v97                                // 00000000295C: 0AC2C33E
	v_mul_f32_e32 v98, v62, v98                                // 000000002960: 0AC4C53E
	v_mul_f32_e32 v99, v62, v99                                // 000000002964: 0AC6C73E
	v_mul_f32_e32 v100, v62, v100                              // 000000002968: 0AC8C93E
	v_mul_f32_e32 v101, v62, v101                              // 00000000296C: 0ACACB3E
	v_mul_f32_e32 v102, v62, v102                              // 000000002970: 0ACCCD3E
	v_mul_f32_e32 v103, v62, v103                              // 000000002974: 0ACECF3E
	v_cvt_i32_f32_e32 v96, v96                                 // 000000002978: 7EC01160
	v_cvt_i32_f32_e32 v97, v97                                 // 00000000297C: 7EC21161
	v_cvt_i32_f32_e32 v98, v98                                 // 000000002980: 7EC41162
	v_cvt_i32_f32_e32 v99, v99                                 // 000000002984: 7EC61163
	v_cvt_i32_f32_e32 v100, v100                               // 000000002988: 7EC81164
	v_cvt_i32_f32_e32 v101, v101                               // 00000000298C: 7ECA1165
	v_cvt_i32_f32_e32 v102, v102                               // 000000002990: 7ECC1166
	v_cvt_i32_f32_e32 v103, v103                               // 000000002994: 7ECE1167
	v_rcp_f32_e32 v54, v62                                     // 000000002998: 7E6C453E
	v_perm_b32 v96, v97, v96, s53                              // 00000000299C: D1ED0060 00D6C161
	v_perm_b32 v96, v98, v96, s54                              // 0000000029A4: D1ED0060 00DAC162
	v_perm_b32 v96, v99, v96, s55                              // 0000000029AC: D1ED0060 00DEC163
	v_perm_b32 v97, v101, v100, s53                            // 0000000029B4: D1ED0061 00D6C965
	v_perm_b32 v97, v102, v97, s54                             // 0000000029BC: D1ED0061 00DAC366
	v_perm_b32 v97, v103, v97, s55                             // 0000000029C4: D1ED0061 00DEC367
	ds_write_b32 v13, v96 offset:25088                         // 0000000029CC: D81A6200 0000600D
	ds_write_b32 v13, v97 offset:26112                         // 0000000029D4: D81A6600 0000610D
	s_waitcnt lgkmcnt(0)                                       // 0000000029DC: BF8CC07F
	s_barrier                                                  // 0000000029E0: BF8A0000
	v_and_b32_e32 v54, v9, v54                                 // 0000000029E4: 266C6D09
	ds_read_b64 v[96:97], v12 offset:25088                     // 0000000029E8: D8EC6200 6000000C
	ds_read_b64 v[98:99], v12 offset:25216                     // 0000000029F0: D8EC6280 6200000C
	ds_read_b64 v[100:101], v12 offset:26112                   // 0000000029F8: D8EC6600 6400000C
	ds_read_b64 v[102:103], v12 offset:26240                   // 000000002A00: D8EC6680 6600000C
	v_mov_b32_e32 v224, 0                                      // 000000002A08: 7FC00280
	v_mov_b32_e32 v225, 0                                      // 000000002A0C: 7FC20280
	v_mov_b32_e32 v226, 0                                      // 000000002A10: 7FC40280
	v_mov_b32_e32 v227, 0                                      // 000000002A14: 7FC60280
	v_mov_b32_e32 v192, 0                                      // 000000002A18: 7F800280
	v_mov_b32_e32 v193, 0                                      // 000000002A1C: 7F820280
	v_mov_b32_e32 v194, 0                                      // 000000002A20: 7F840280
	v_mov_b32_e32 v195, 0                                      // 000000002A24: 7F860280
	v_mov_b32_e32 v196, 0                                      // 000000002A28: 7F880280
	v_mov_b32_e32 v197, 0                                      // 000000002A2C: 7F8A0280
	v_mov_b32_e32 v198, 0                                      // 000000002A30: 7F8C0280
	v_mov_b32_e32 v199, 0                                      // 000000002A34: 7F8E0280
	v_or_b32_dpp v54, v54, v54 row_shr:8 row_mask:0xf bank_mask:0xf bound_ctrl:1// 000000002A38: 286C6CFA FF091836
	s_waitcnt vmcnt(8) lgkmcnt(0)                              // 000000002A40: BF8C0078
	s_barrier                                                  // 000000002A44: BF8A0000
	s_cmp_lt_u32 s73, 16                                       // 000000002A48: BF0A9049
	s_cbranch_scc1 label_09E3                                  // 000000002A4C: BF8507CF
	s_cmp_lt_i32 s7, 2                                         // 000000002A50: BF048207
	s_cbranch_scc0 label_05FE                                  // 000000002A54: BF8403E8

0000000000002a58 <label_0216>:
	s_waitcnt vmcnt(8) lgkmcnt(0)                              // 000000002A58: BF8C0078
	v_mul_u32_u24_dpp v41, v20, v68 row_newbcast:0 row_mask:0xf bank_mask:0xf// 000000002A5C: 105288FA FF015014
	v_mul_u32_u24_dpp v42, v20, v68 row_newbcast:4 row_mask:0xf bank_mask:0xf// 000000002A64: 105488FA FF015414
	v_mul_u32_u24_dpp v43, v20, v68 row_newbcast:8 row_mask:0xf bank_mask:0xf// 000000002A6C: 105688FA FF015814
	v_mul_u32_u24_dpp v44, v20, v68 row_newbcast:12 row_mask:0xf bank_mask:0xf// 000000002A74: 105888FA FF015C14
	v_add_u32_e32 v29, v41, v6                                 // 000000002A7C: 683A0D29
	v_add_u32_e32 v30, v42, v6                                 // 000000002A80: 683C0D2A
	v_add_u32_e32 v31, v43, v6                                 // 000000002A84: 683E0D2B
	v_add_u32_e32 v32, v44, v6                                 // 000000002A88: 68400D2C
	v_mul_u32_u24_dpp v41, v20, v78 quad_perm:[0,0,0,0] row_mask:0xf bank_mask:0xf// 000000002A8C: 10529CFA FF000014
	v_add_u32_e32 v3, v41, v74                                 // 000000002A94: 68069529
	v_mul_u32_u24_dpp v41, v20, v78 quad_perm:[0,0,0,0] row_mask:0xf bank_mask:0xf// 000000002A98: 10529CFA FF000014
	v_add_u32_e32 v71, v41, v75                                // 000000002AA0: 688E9729
	v_mfma_i32_16x16x32_i8 v[128:131], a[0:1], v[96:97], 0     // 000000002AA4: D3D70080 0A02C100
	v_mfma_i32_16x16x32_i8 v[128:131], a[2:3], v[98:99], v[128:131]// 000000002AAC: D3D70080 0E02C502
	buffer_load_dwordx4 a[32:35], v29, s[16:19], 0 offen       // 000000002AB4: E05C1000 8084201D
	v_mfma_i32_16x16x32_i8 v[128:131], a[4:5], v[100:101], v[128:131]// 000000002ABC: D3D70080 0E02C904
	v_mfma_i32_16x16x32_i8 v[128:131], a[6:7], v[102:103], v[128:131]// 000000002AC4: D3D70080 0E02CD06
	buffer_load_dword v19, v1, s[24:27], 0 offen               // 000000002ACC: E0501000 80061301
	v_mfma_i32_16x16x32_i8 v[132:135], a[8:9], v[96:97], 0     // 000000002AD4: D3D70084 0A02C108
	v_mfma_i32_16x16x32_i8 v[132:135], a[10:11], v[98:99], v[132:135]// 000000002ADC: D3D70084 0E12C50A
	buffer_load_dwordx4 a[36:39], v29, s[16:19], 0 offen offset:1024// 000000002AE4: E05C1400 8084241D
	v_mfma_i32_16x16x32_i8 v[132:135], a[12:13], v[100:101], v[132:135]// 000000002AEC: D3D70084 0E12C90C
	v_mfma_i32_16x16x32_i8 v[132:135], a[14:15], v[102:103], v[132:135]// 000000002AF4: D3D70084 0E12CD0E
	v_mfma_i32_16x16x32_i8 v[136:139], a[16:17], v[96:97], 0   // 000000002AFC: D3D70088 0A02C110
	v_mfma_i32_16x16x32_i8 v[136:139], a[18:19], v[98:99], v[136:139]// 000000002B04: D3D70088 0E22C512
	buffer_load_dwordx4 a[40:43], v30, s[16:19], 0 offen       // 000000002B0C: E05C1000 8084281E
	v_mfma_i32_16x16x32_i8 v[136:139], a[20:21], v[100:101], v[136:139]// 000000002B14: D3D70088 0E22C914
	v_mfma_i32_16x16x32_i8 v[136:139], a[22:23], v[102:103], v[136:139]// 000000002B1C: D3D70088 0E22CD16
	v_mfma_i32_16x16x32_i8 v[140:143], a[24:25], v[96:97], 0   // 000000002B24: D3D7008C 0A02C118
	v_mfma_i32_16x16x32_i8 v[140:143], a[26:27], v[98:99], v[140:143]// 000000002B2C: D3D7008C 0E32C51A
	buffer_load_dwordx4 a[44:47], v30, s[16:19], 0 offen offset:1024// 000000002B34: E05C1400 80842C1E
	v_mfma_i32_16x16x32_i8 v[140:143], a[28:29], v[100:101], v[140:143]// 000000002B3C: D3D7008C 0E32C91C
	v_mfma_i32_16x16x32_i8 v[140:143], a[30:31], v[102:103], v[140:143]// 000000002B44: D3D7008C 0E32CD1E
	buffer_load_dword v53, v3, s[32:35], 0 offen               // 000000002B4C: E0501000 80083503
	v_mov_b32_dpp v41, v52 row_shr:4 row_mask:0xf bank_mask:0xf// 000000002B54: 7E5202FA FF011434
	v_mov_b32_dpp v42, v52 row_shl:4 row_mask:0xf bank_mask:0xf// 000000002B5C: 7E5402FA FF010434
	v_cndmask_b32_e64 v248, v52, v41, s[44:45]                 // 000000002B64: D10000F8 00B25334
	v_cndmask_b32_e64 v249, v42, v52, s[44:45]                 // 000000002B6C: D10000F9 00B2692A
	v_mov_b32_dpp v41, v72 row_shr:4 row_mask:0xf bank_mask:0xf// 000000002B74: 7E5202FA FF011448
	v_mov_b32_dpp v42, v72 row_shl:4 row_mask:0xf bank_mask:0xf// 000000002B7C: 7E5402FA FF010448
	v_cndmask_b32_e64 v252, v72, v41, s[44:45]                 // 000000002B84: D10000FC 00B25348
	v_cndmask_b32_e64 v253, v42, v72, s[44:45]                 // 000000002B8C: D10000FD 00B2912A
	v_or_b32_dpp v128, v136, v128 row_shr:8 row_mask:0xf bank_mask:0xf bound_ctrl:1// 000000002B94: 290100FA FF091888
	v_or_b32_dpp v129, v137, v129 row_shr:8 row_mask:0xf bank_mask:0xf bound_ctrl:1// 000000002B9C: 290302FA FF091889
	v_or_b32_dpp v130, v138, v130 row_shr:8 row_mask:0xf bank_mask:0xf bound_ctrl:1// 000000002BA4: 290504FA FF09188A
	v_or_b32_dpp v131, v139, v131 row_shr:8 row_mask:0xf bank_mask:0xf bound_ctrl:1// 000000002BAC: 290706FA FF09188B
	v_or_b32_dpp v132, v140, v132 row_shr:8 row_mask:0xf bank_mask:0xf bound_ctrl:1// 000000002BB4: 290908FA FF09188C
	v_or_b32_dpp v133, v141, v133 row_shr:8 row_mask:0xf bank_mask:0xf bound_ctrl:1// 000000002BBC: 290B0AFA FF09188D
	v_or_b32_dpp v134, v142, v134 row_shr:8 row_mask:0xf bank_mask:0xf bound_ctrl:1// 000000002BC4: 290D0CFA FF09188E
	v_or_b32_dpp v135, v143, v135 row_shr:8 row_mask:0xf bank_mask:0xf bound_ctrl:1// 000000002BCC: 290F0EFA FF09188F
	buffer_load_dword v73, v71, s[36:39], 0 offen              // 000000002BD4: E0501000 80094947
	v_cvt_f32_i32_e32 v128, v128                               // 000000002BDC: 7F000B80
	v_cvt_f32_i32_e32 v129, v129                               // 000000002BE0: 7F020B81
	v_cvt_f32_i32_e32 v130, v130                               // 000000002BE4: 7F040B82
	v_cvt_f32_i32_e32 v131, v131                               // 000000002BE8: 7F060B83
	v_cvt_f32_i32_e32 v132, v132                               // 000000002BEC: 7F080B84
	v_cvt_f32_i32_e32 v133, v133                               // 000000002BF0: 7F0A0B85
	v_cvt_f32_i32_e32 v134, v134                               // 000000002BF4: 7F0C0B86
	v_cvt_f32_i32_e32 v135, v135                               // 000000002BF8: 7F0E0B87
	v_mul_f32_e32 v128, v54, v128                              // 000000002BFC: 0B010136
	v_mul_f32_e32 v129, v54, v129                              // 000000002C00: 0B030336
	v_mul_f32_e32 v130, v54, v130                              // 000000002C04: 0B050536
	v_mul_f32_e32 v131, v54, v131                              // 000000002C08: 0B070736
	v_mul_f32_e32 v132, v54, v132                              // 000000002C0C: 0B090936
	v_mul_f32_e32 v133, v54, v133                              // 000000002C10: 0B0B0B36
	v_mul_f32_e32 v134, v54, v134                              // 000000002C14: 0B0D0D36
	v_mul_f32_e32 v135, v54, v135                              // 000000002C18: 0B0F0F36
	buffer_load_dwordx4 a[48:51], v31, s[16:19], 0 offen       // 000000002C1C: E05C1000 8084301F
	v_mul_f32_dpp v128, v248, v128 quad_perm:[0,0,0,0] row_mask:0xf bank_mask:0xf// 000000002C24: 0B0100FA FF0000F8
	v_mul_f32_dpp v129, v248, v129 quad_perm:[1,1,1,1] row_mask:0xf bank_mask:0xf// 000000002C2C: 0B0302FA FF0055F8
	v_mul_f32_dpp v130, v248, v130 quad_perm:[2,2,2,2] row_mask:0xf bank_mask:0xf// 000000002C34: 0B0504FA FF00AAF8
	v_mul_f32_dpp v131, v248, v131 quad_perm:[3,3,3,3] row_mask:0xf bank_mask:0xf// 000000002C3C: 0B0706FA FF00FFF8
	v_mul_f32_dpp v132, v249, v132 quad_perm:[0,0,0,0] row_mask:0xf bank_mask:0xf// 000000002C44: 0B0908FA FF0000F9
	v_mul_f32_dpp v133, v249, v133 quad_perm:[1,1,1,1] row_mask:0xf bank_mask:0xf// 000000002C4C: 0B0B0AFA FF0055F9
	v_mul_f32_dpp v134, v249, v134 quad_perm:[2,2,2,2] row_mask:0xf bank_mask:0xf// 000000002C54: 0B0D0CFA FF00AAF9
	v_mul_f32_dpp v135, v249, v135 quad_perm:[3,3,3,3] row_mask:0xf bank_mask:0xf// 000000002C5C: 0B0F0EFA FF00FFF9
	buffer_load_dwordx4 a[52:55], v31, s[16:19], 0 offen offset:1024// 000000002C64: E05C1400 8084341F
	v_mov_b32_e32 v62, v128                                    // 000000002C6C: 7E7C0380
	v_max3_f32 v62, v128, v129, v62                            // 000000002C70: D1D3003E 04FB0380
	v_max3_f32 v62, v130, v131, v62                            // 000000002C78: D1D3003E 04FB0782
	v_max3_f32 v62, v132, v133, v62                            // 000000002C80: D1D3003E 04FB0B84
	v_max3_f32 v62, v134, v135, v62                            // 000000002C88: D1D3003E 04FB0F86
	ds_write_b32 v11, v62 offset:16896                         // 000000002C90: D81A4200 00003E0B
	buffer_load_dwordx4 a[56:59], v32, s[16:19], 0 offen       // 000000002C98: E05C1000 80843820
	v_mul_u32_u24_dpp v41, v20, v68 row_newbcast:1 row_mask:0xf bank_mask:0xf// 000000002CA0: 105288FA FF015114
	v_mul_u32_u24_dpp v42, v20, v68 row_newbcast:5 row_mask:0xf bank_mask:0xf// 000000002CA8: 105488FA FF015514
	v_mul_u32_u24_dpp v43, v20, v68 row_newbcast:9 row_mask:0xf bank_mask:0xf// 000000002CB0: 105688FA FF015914
	v_mul_u32_u24_dpp v44, v20, v68 row_newbcast:13 row_mask:0xf bank_mask:0xf// 000000002CB8: 105888FA FF015D14
	v_add_u32_e32 v37, v41, v7                                 // 000000002CC0: 684A0F29
	v_add_u32_e32 v38, v42, v7                                 // 000000002CC4: 684C0F2A
	v_add_u32_e32 v39, v43, v7                                 // 000000002CC8: 684E0F2B
	v_add_u32_e32 v40, v44, v7                                 // 000000002CCC: 68500F2C
	s_waitcnt lgkmcnt(0)                                       // 000000002CD0: BF8CC07F
	s_barrier                                                  // 000000002CD4: BF8A0000
	ds_read_b32 v80, v10 offset:16896                          // 000000002CD8: D86C4200 5000000A
	ds_read_b32 v81, v10 offset:16960                          // 000000002CE0: D86C4240 5100000A
	ds_read_b32 v82, v10 offset:17024                          // 000000002CE8: D86C4280 5200000A
	ds_read_b32 v83, v10 offset:17088                          // 000000002CF0: D86C42C0 5300000A
	ds_read_b32 v84, v10 offset:17152                          // 000000002CF8: D86C4300 5400000A
	ds_read_b32 v85, v10 offset:17216                          // 000000002D00: D86C4340 5500000A
	ds_read_b32 v86, v10 offset:17280                          // 000000002D08: D86C4380 5600000A
	ds_read_b32 v87, v10 offset:17344                          // 000000002D10: D86C43C0 5700000A
	ds_read_b32 v88, v10 offset:17408                          // 000000002D18: D86C4400 5800000A
	ds_read_b32 v89, v10 offset:17472                          // 000000002D20: D86C4440 5900000A
	ds_read_b32 v90, v10 offset:17536                          // 000000002D28: D86C4480 5A00000A
	ds_read_b32 v91, v10 offset:17600                          // 000000002D30: D86C44C0 5B00000A
	ds_read_b32 v92, v10 offset:17664                          // 000000002D38: D86C4500 5C00000A
	ds_read_b32 v93, v10 offset:17728                          // 000000002D40: D86C4540 5D00000A
	ds_read_b32 v94, v10 offset:17792                          // 000000002D48: D86C4580 5E00000A
	ds_read_b32 v95, v10 offset:17856                          // 000000002D50: D86C45C0 5F00000A
	buffer_load_dwordx4 a[60:63], v32, s[16:19], 0 offen offset:1024// 000000002D58: E05C1400 80843C20
	v_mul_f32_e32 v224, v63, v224                              // 000000002D60: 0BC1C13F
	v_mul_f32_e32 v225, v63, v225                              // 000000002D64: 0BC3C33F
	v_mul_f32_e32 v226, v63, v226                              // 000000002D68: 0BC5C53F
	v_mul_f32_e32 v227, v63, v227                              // 000000002D6C: 0BC7C73F
	v_or_b32_dpp v192, v196, v192 row_shr:8 row_mask:0xf bank_mask:0xf bound_ctrl:1// 000000002D70: 298180FA FF0918C4
	v_or_b32_dpp v193, v197, v193 row_shr:8 row_mask:0xf bank_mask:0xf bound_ctrl:1// 000000002D78: 298382FA FF0918C5
	v_or_b32_dpp v194, v198, v194 row_shr:8 row_mask:0xf bank_mask:0xf bound_ctrl:1// 000000002D80: 298584FA FF0918C6
	v_or_b32_dpp v195, v199, v195 row_shr:8 row_mask:0xf bank_mask:0xf bound_ctrl:1// 000000002D88: 298786FA FF0918C7
	s_waitcnt lgkmcnt(0)                                       // 000000002D90: BF8CC07F
	v_max3_f32 v62, v80, v81, v62                              // 000000002D94: D1D3003E 04FAA350
	v_max3_f32 v62, v82, v83, v62                              // 000000002D9C: D1D3003E 04FAA752
	v_max3_f32 v62, v84, v85, v62                              // 000000002DA4: D1D3003E 04FAAB54
	v_max3_f32 v62, v86, v87, v62                              // 000000002DAC: D1D3003E 04FAAF56
	v_max3_f32 v62, v88, v89, v62                              // 000000002DB4: D1D3003E 04FAB358
	v_max3_f32 v62, v90, v91, v62                              // 000000002DBC: D1D3003E 04FAB75A
	v_max3_f32 v62, v92, v93, v62                              // 000000002DC4: D1D3003E 04FABB5C
	v_max3_f32 v62, v94, v95, v62                              // 000000002DCC: D1D3003E 04FABF5E
	buffer_load_dwordx4 a[96:99], v37, s[20:23], 0 offen       // 000000002DD4: E05C1000 80856025
	v_cmp_eq_u32_e64 s[40:41], v69, v14                        // 000000002DDC: D0CA0028 00021D45
	s_nop 1                                                    // 000000002DE4: BF800001
	v_mov_b32_dpp v41, v62 row_ror:8 row_mask:0xf bank_mask:0xf// 000000002DE8: 7E5202FA FF01283E
	v_max_f32_e32 v62, v62, v41                                // 000000002DF0: 167C533E
	v_max_f32_e32 v18, v62, v14                                // 000000002DF4: 16241D3E
	v_mul_f32_e32 v67, s64, v18                                // 000000002DF8: 0A862440
	v_fma_f32 v128, v128, s64, -v67                            // 000000002DFC: D1CB0080 850C8180
	v_fma_f32 v129, v129, s64, -v67                            // 000000002E04: D1CB0081 850C8181
	v_fma_f32 v130, v130, s64, -v67                            // 000000002E0C: D1CB0082 850C8182
	v_fma_f32 v131, v131, s64, -v67                            // 000000002E14: D1CB0083 850C8183
	v_fma_f32 v132, v132, s64, -v67                            // 000000002E1C: D1CB0084 850C8184
	v_fma_f32 v133, v133, s64, -v67                            // 000000002E24: D1CB0085 850C8185
	v_fma_f32 v134, v134, s64, -v67                            // 000000002E2C: D1CB0086 850C8186
	v_fma_f32 v135, v135, s64, -v67                            // 000000002E34: D1CB0087 850C8187
	buffer_load_dwordx4 a[100:103], v38, s[20:23], 0 offen     // 000000002E3C: E05C1000 80856426
	v_exp_f32_e32 v128, v128                                   // 000000002E44: 7F004180
	v_exp_f32_e32 v129, v129                                   // 000000002E48: 7F024181
	v_exp_f32_e32 v130, v130                                   // 000000002E4C: 7F044182
	v_exp_f32_e32 v131, v131                                   // 000000002E50: 7F064183
	v_exp_f32_e32 v132, v132                                   // 000000002E54: 7F084184
	v_exp_f32_e32 v133, v133                                   // 000000002E58: 7F0A4185
	v_exp_f32_e32 v134, v134                                   // 000000002E5C: 7F0C4186
	v_exp_f32_e32 v135, v135                                   // 000000002E60: 7F0E4187
	buffer_load_dwordx4 a[104:107], v39, s[20:23], 0 offen     // 000000002E64: E05C1000 80856827
	v_mul_f32_dpp v240, v252, v128 quad_perm:[0,0,0,0] row_mask:0xf bank_mask:0xf// 000000002E6C: 0BE100FA FF0000FC
	v_mul_f32_dpp v241, v252, v129 quad_perm:[1,1,1,1] row_mask:0xf bank_mask:0xf// 000000002E74: 0BE302FA FF0055FC
	v_mul_f32_dpp v242, v252, v130 quad_perm:[2,2,2,2] row_mask:0xf bank_mask:0xf// 000000002E7C: 0BE504FA FF00AAFC
	v_mul_f32_dpp v243, v252, v131 quad_perm:[3,3,3,3] row_mask:0xf bank_mask:0xf// 000000002E84: 0BE706FA FF00FFFC
	v_mul_f32_dpp v244, v253, v132 quad_perm:[0,0,0,0] row_mask:0xf bank_mask:0xf// 000000002E8C: 0BE908FA FF0000FD
	v_mul_f32_dpp v245, v253, v133 quad_perm:[1,1,1,1] row_mask:0xf bank_mask:0xf// 000000002E94: 0BEB0AFA FF0055FD
	v_mul_f32_dpp v246, v253, v134 quad_perm:[2,2,2,2] row_mask:0xf bank_mask:0xf// 000000002E9C: 0BED0CFA FF00AAFD
	v_mul_f32_dpp v247, v253, v135 quad_perm:[3,3,3,3] row_mask:0xf bank_mask:0xf// 000000002EA4: 0BEF0EFA FF00FFFD
	v_mov_b32_e32 v62, 0x358637bd                              // 000000002EAC: 7E7C02FF 358637BD
	v_max3_f32 v62, |v240|, |v241|, v62                        // 000000002EB4: D1D3033E 04FBE3F0
	v_max3_f32 v62, |v242|, |v243|, v62                        // 000000002EBC: D1D3033E 04FBE7F2
	v_max3_f32 v62, |v244|, |v245|, v62                        // 000000002EC4: D1D3033E 04FBEBF4
	v_max3_f32 v62, |v246|, |v247|, v62                        // 000000002ECC: D1D3033E 04FBEFF6
	buffer_load_dwordx4 a[108:111], v40, s[20:23], 0 offen     // 000000002ED4: E05C1000 80856C28
	ds_write_b32 v11, v62 offset:20992                         // 000000002EDC: D81A5200 00003E0B
	v_sub_f32_e32 v63, v14, v18                                // 000000002EE4: 047E250E
	v_cndmask_b32_e64 v63, v63, 0, s[40:41]                    // 000000002EE8: D100003F 00A1013F
	v_mov_b32_e32 v14, v18                                     // 000000002EF0: 7E1C0312
	v_mul_f32_e32 v63, s64, v63                                // 000000002EF4: 0A7E7E40
	v_exp_f32_e32 v63, v63                                     // 000000002EF8: 7E7E413F
	s_waitcnt lgkmcnt(0)                                       // 000000002EFC: BF8CC07F
	s_barrier                                                  // 000000002F00: BF8A0000
	ds_read_b32 v80, v10 offset:20992                          // 000000002F04: D86C5200 5000000A
	ds_read_b32 v81, v10 offset:21056                          // 000000002F0C: D86C5240 5100000A
	ds_read_b32 v82, v10 offset:21120                          // 000000002F14: D86C5280 5200000A
	ds_read_b32 v83, v10 offset:21184                          // 000000002F1C: D86C52C0 5300000A
	ds_read_b32 v84, v10 offset:21248                          // 000000002F24: D86C5300 5400000A
	ds_read_b32 v85, v10 offset:21312                          // 000000002F2C: D86C5340 5500000A
	ds_read_b32 v86, v10 offset:21376                          // 000000002F34: D86C5380 5600000A
	ds_read_b32 v87, v10 offset:21440                          // 000000002F3C: D86C53C0 5700000A
	ds_read_b32 v88, v10 offset:21504                          // 000000002F44: D86C5400 5800000A
	ds_read_b32 v89, v10 offset:21568                          // 000000002F4C: D86C5440 5900000A
	ds_read_b32 v90, v10 offset:21632                          // 000000002F54: D86C5480 5A00000A
	ds_read_b32 v91, v10 offset:21696                          // 000000002F5C: D86C54C0 5B00000A
	ds_read_b32 v92, v10 offset:21760                          // 000000002F64: D86C5500 5C00000A
	ds_read_b32 v93, v10 offset:21824                          // 000000002F6C: D86C5540 5D00000A
	ds_read_b32 v94, v10 offset:21888                          // 000000002F74: D86C5580 5E00000A
	ds_read_b32 v95, v10 offset:21952                          // 000000002F7C: D86C55C0 5F00000A
	v_mul_f32_e32 v47, v63, v47                                // 000000002F84: 0A5E5F3F
	v_mov_b32_e32 v51, v128                                    // 000000002F88: 7E660380
	v_add_f32_e32 v51, v129, v51                               // 000000002F8C: 02666781
	v_add_f32_e32 v51, v130, v51                               // 000000002F90: 02666782
	v_add_f32_e32 v51, v131, v51                               // 000000002F94: 02666783
	v_add_f32_e32 v51, v132, v51                               // 000000002F98: 02666784
	v_add_f32_e32 v51, v133, v51                               // 000000002F9C: 02666785
	v_add_f32_e32 v51, v134, v51                               // 000000002FA0: 02666786
	v_add_f32_e32 v51, v135, v51                               // 000000002FA4: 02666787
	v_add_f32_e32 v47, v51, v47                                // 000000002FA8: 025E5F33
	s_waitcnt lgkmcnt(0)                                       // 000000002FAC: BF8CC07F
	v_max3_f32 v62, |v80|, |v81|, v62                          // 000000002FB0: D1D3033E 04FAA350
	v_max3_f32 v62, |v82|, |v83|, v62                          // 000000002FB8: D1D3033E 04FAA752
	v_max3_f32 v62, |v84|, |v85|, v62                          // 000000002FC0: D1D3033E 04FAAB54
	v_max3_f32 v62, |v86|, |v87|, v62                          // 000000002FC8: D1D3033E 04FAAF56
	v_max3_f32 v62, |v88|, |v89|, v62                          // 000000002FD0: D1D3033E 04FAB358
	v_max3_f32 v62, |v90|, |v91|, v62                          // 000000002FD8: D1D3033E 04FAB75A
	v_max3_f32 v62, |v92|, |v93|, v62                          // 000000002FE0: D1D3033E 04FABB5C
	v_max3_f32 v62, |v94|, |v95|, v62                          // 000000002FE8: D1D3033E 04FABF5E
	s_nop 2                                                    // 000000002FF0: BF800002
	v_mov_b32_dpp v41, v62 row_ror:8 row_mask:0xf bank_mask:0xf// 000000002FF4: 7E5202FA FF01283E
	v_max_f32_e32 v62, v62, v41                                // 000000002FFC: 167C533E
	v_rcp_f32_e32 v62, v62                                     // 000000003000: 7E7C453E
	s_nop 1                                                    // 000000003004: BF800001
	v_mul_f32_e32 v62, 0x42fe0000, v62                         // 000000003008: 0A7C7CFF 42FE0000
	v_mul_f32_e32 v128, v62, v240                              // 000000003010: 0B01E13E
	v_mul_f32_e32 v129, v62, v241                              // 000000003014: 0B03E33E
	v_mul_f32_e32 v130, v62, v242                              // 000000003018: 0B05E53E
	v_mul_f32_e32 v131, v62, v243                              // 00000000301C: 0B07E73E
	v_mul_f32_e32 v132, v62, v244                              // 000000003020: 0B09E93E
	v_mul_f32_e32 v133, v62, v245                              // 000000003024: 0B0BEB3E
	v_mul_f32_e32 v134, v62, v246                              // 000000003028: 0B0DED3E
	v_mul_f32_e32 v135, v62, v247                              // 00000000302C: 0B0FEF3E
	v_cvt_i32_f32_e32 v128, v128                               // 000000003030: 7F001180
	v_cvt_i32_f32_e32 v129, v129                               // 000000003034: 7F021181
	v_cvt_i32_f32_e32 v130, v130                               // 000000003038: 7F041182
	v_cvt_i32_f32_e32 v131, v131                               // 00000000303C: 7F061183
	v_cvt_i32_f32_e32 v132, v132                               // 000000003040: 7F081184
	v_cvt_i32_f32_e32 v133, v133                               // 000000003044: 7F0A1185
	v_cvt_i32_f32_e32 v134, v134                               // 000000003048: 7F0C1186
	v_cvt_i32_f32_e32 v135, v135                               // 00000000304C: 7F0E1187
	v_perm_b32 v128, v129, v128, s53                           // 000000003050: D1ED0080 00D70181
	v_perm_b32 v128, v130, v128, s54                           // 000000003058: D1ED0080 00DB0182
	v_perm_b32 v128, v131, v128, s55                           // 000000003060: D1ED0080 00DF0183
	v_perm_b32 v129, v133, v132, s53                           // 000000003068: D1ED0081 00D70985
	v_perm_b32 v129, v134, v129, s54                           // 000000003070: D1ED0081 00DB0386
	v_perm_b32 v129, v135, v129, s55                           // 000000003078: D1ED0081 00DF0387
	ds_write_b32 v13, v128 offset:25088                        // 000000003080: D81A6200 0000800D
	ds_write_b32 v13, v129 offset:26112                        // 000000003088: D81A6600 0000810D
	v_cvt_f32_i32_e32 v192, v192                               // 000000003090: 7F800BC0
	v_cvt_f32_i32_e32 v193, v193                               // 000000003094: 7F820BC1
	v_cvt_f32_i32_e32 v194, v194                               // 000000003098: 7F840BC2
	v_cvt_f32_i32_e32 v195, v195                               // 00000000309C: 7F860BC3
	v_mul_f32_e32 v192, v58, v192                              // 0000000030A0: 0B81813A
	v_mul_f32_e32 v193, v58, v193                              // 0000000030A4: 0B83833A
	v_mul_f32_e32 v194, v58, v194                              // 0000000030A8: 0B85853A
	v_mul_f32_e32 v195, v58, v195                              // 0000000030AC: 0B87873A
	v_rcp_f32_e32 v58, v62                                     // 0000000030B0: 7E74453E
	s_waitcnt lgkmcnt(0)                                       // 0000000030B4: BF8CC07F
	s_barrier                                                  // 0000000030B8: BF8A0000
	ds_read_b64 v[128:129], v12 offset:25088                   // 0000000030BC: D8EC6200 8000000C
	ds_read_b64 v[130:131], v12 offset:25216                   // 0000000030C4: D8EC6280 8200000C
	ds_read_b64 v[132:133], v12 offset:26112                   // 0000000030CC: D8EC6600 8400000C
	ds_read_b64 v[134:135], v12 offset:26240                   // 0000000030D4: D8EC6680 8600000C
	v_add_f32_e32 v224, v224, v192                             // 0000000030DC: 03C181E0
	v_add_f32_e32 v225, v225, v193                             // 0000000030E0: 03C383E1
	v_add_f32_e32 v226, v226, v194                             // 0000000030E4: 03C585E2
	v_add_f32_e32 v227, v227, v195                             // 0000000030E8: 03C787E3
	s_waitcnt lgkmcnt(3)                                       // 0000000030EC: BF8CC37F
	v_mov_b32_dpp v136, v128 row_shl:8 row_mask:0xf bank_mask:0xf bound_ctrl:1// 0000000030F0: 7F1002FA FF090880
	v_and_b32_e32 v128, v128, v9                               // 0000000030F8: 27001380
	v_mov_b32_dpp v137, v129 row_shl:8 row_mask:0xf bank_mask:0xf bound_ctrl:1// 0000000030FC: 7F1202FA FF090881
	v_and_b32_e32 v129, v129, v9                               // 000000003104: 27021381
	s_waitcnt lgkmcnt(2)                                       // 000000003108: BF8CC27F
	v_mov_b32_dpp v138, v130 row_shl:8 row_mask:0xf bank_mask:0xf bound_ctrl:1// 00000000310C: 7F1402FA FF090882
	v_and_b32_e32 v130, v130, v9                               // 000000003114: 27041382
	v_mov_b32_dpp v139, v131 row_shl:8 row_mask:0xf bank_mask:0xf bound_ctrl:1// 000000003118: 7F1602FA FF090883
	v_and_b32_e32 v131, v131, v9                               // 000000003120: 27061383
	s_waitcnt lgkmcnt(1)                                       // 000000003124: BF8CC17F
	v_mov_b32_dpp v140, v132 row_shl:8 row_mask:0xf bank_mask:0xf bound_ctrl:1// 000000003128: 7F1802FA FF090884
	v_and_b32_e32 v132, v132, v9                               // 000000003130: 27081384
	v_mov_b32_dpp v141, v133 row_shl:8 row_mask:0xf bank_mask:0xf bound_ctrl:1// 000000003134: 7F1A02FA FF090885
	v_and_b32_e32 v133, v133, v9                               // 00000000313C: 270A1385
	s_waitcnt lgkmcnt(0)                                       // 000000003140: BF8CC07F
	v_mov_b32_dpp v142, v134 row_shl:8 row_mask:0xf bank_mask:0xf bound_ctrl:1// 000000003144: 7F1C02FA FF090886
	v_and_b32_e32 v134, v134, v9                               // 00000000314C: 270C1386
	v_mov_b32_dpp v143, v135 row_shl:8 row_mask:0xf bank_mask:0xf bound_ctrl:1// 000000003150: 7F1E02FA FF090887
	v_and_b32_e32 v135, v135, v9                               // 000000003158: 270E1387
	s_waitcnt vmcnt(15)                                        // 00000000315C: BF8C0F7F
	v_mfma_i32_16x16x32_i8 v[192:195], a[64:65], v[128:129], 0 // 000000003160: D3D700C0 0A030140
	v_mfma_i32_16x16x32_i8 v[192:195], a[66:67], v[130:131], v[192:195]// 000000003168: D3D700C0 0F030542
	buffer_load_dwordx4 a[112:115], v37, s[20:23], 0 offen offset:1024// 000000003170: E05C1400 80857025
	v_mfma_i32_16x16x32_i8 v[192:195], a[68:69], v[132:133], v[192:195]// 000000003178: D3D700C0 0F030944
	v_mfma_i32_16x16x32_i8 v[192:195], a[70:71], v[134:135], v[192:195]// 000000003180: D3D700C0 0F030D46
	v_mfma_i32_16x16x32_i8 v[192:195], a[72:73], v[136:137], v[192:195]// 000000003188: D3D700C0 0F031148
	v_mfma_i32_16x16x32_i8 v[192:195], a[74:75], v[138:139], v[192:195]// 000000003190: D3D700C0 0F03154A
	buffer_load_dwordx4 a[116:119], v38, s[20:23], 0 offen offset:1024// 000000003198: E05C1400 80857426
	v_mfma_i32_16x16x32_i8 v[192:195], a[76:77], v[140:141], v[192:195]// 0000000031A0: D3D700C0 0F03194C
	v_mfma_i32_16x16x32_i8 v[192:195], a[78:79], v[142:143], v[192:195]// 0000000031A8: D3D700C0 0F031D4E
	v_mfma_i32_16x16x32_i8 v[196:199], a[80:81], v[128:129], 0 // 0000000031B0: D3D700C4 0A030150
	v_mfma_i32_16x16x32_i8 v[196:199], a[82:83], v[130:131], v[196:199]// 0000000031B8: D3D700C4 0F130552
	buffer_load_dwordx4 a[120:123], v39, s[20:23], 0 offen offset:1024// 0000000031C0: E05C1400 80857827
	v_mfma_i32_16x16x32_i8 v[196:199], a[84:85], v[132:133], v[196:199]// 0000000031C8: D3D700C4 0F130954
	v_mfma_i32_16x16x32_i8 v[196:199], a[86:87], v[134:135], v[196:199]// 0000000031D0: D3D700C4 0F130D56
	v_mfma_i32_16x16x32_i8 v[196:199], a[88:89], v[136:137], v[196:199]// 0000000031D8: D3D700C4 0F131158
	v_mfma_i32_16x16x32_i8 v[196:199], a[90:91], v[138:139], v[196:199]// 0000000031E0: D3D700C4 0F13155A
	buffer_load_dwordx4 a[124:127], v40, s[20:23], 0 offen offset:1024// 0000000031E8: E05C1400 80857C28
	v_mfma_i32_16x16x32_i8 v[196:199], a[92:93], v[140:141], v[196:199]// 0000000031F0: D3D700C4 0F13195C
	s_lshr_b32 s57, s70, 4                                     // 0000000031F8: 8F398446
	s_add_u32 s57, 48, s57                                     // 0000000031FC: 803939B0
	v_mfma_i32_16x16x32_i8 v[196:199], a[94:95], v[142:143], v[196:199]// 000000003200: D3D700C4 0F131D5E
	s_cmp_ge_u32 s57, s73                                      // 000000003208: BF094939
	s_cselect_b32 s56, 0, s56                                  // 00000000320C: 85383880
	v_add_u32_e32 v1, s56, v1                                  // 000000003210: 68020238
	s_addk_i32 s70, 0x100                                      // 000000003214: B7460100
	s_cmp_lt_i32 s70, s71                                      // 000000003218: BF044746
	s_cbranch_scc0 label_05FB                                  // 00000000321C: BF8401F3
	s_waitcnt vmcnt(8) lgkmcnt(0)                              // 000000003220: BF8C0078
	v_mul_u32_u24_dpp v41, v19, v68 row_newbcast:0 row_mask:0xf bank_mask:0xf// 000000003224: 105288FA FF015013
	v_mul_u32_u24_dpp v42, v19, v68 row_newbcast:4 row_mask:0xf bank_mask:0xf// 00000000322C: 105488FA FF015413
	v_mul_u32_u24_dpp v43, v19, v68 row_newbcast:8 row_mask:0xf bank_mask:0xf// 000000003234: 105688FA FF015813
	v_mul_u32_u24_dpp v44, v19, v68 row_newbcast:12 row_mask:0xf bank_mask:0xf// 00000000323C: 105888FA FF015C13
	v_add_u32_e32 v25, v41, v6                                 // 000000003244: 68320D29
	v_add_u32_e32 v26, v42, v6                                 // 000000003248: 68340D2A
	v_add_u32_e32 v27, v43, v6                                 // 00000000324C: 68360D2B
	v_add_u32_e32 v28, v44, v6                                 // 000000003250: 68380D2C
	v_mul_u32_u24_dpp v41, v19, v78 quad_perm:[0,0,0,0] row_mask:0xf bank_mask:0xf// 000000003254: 10529CFA FF000013
	v_add_u32_e32 v2, v41, v74                                 // 00000000325C: 68049529
	v_mul_u32_u24_dpp v41, v19, v78 quad_perm:[0,0,0,0] row_mask:0xf bank_mask:0xf// 000000003260: 10529CFA FF000013
	v_add_u32_e32 v70, v41, v75                                // 000000003268: 688C9729
	v_mfma_i32_16x16x32_i8 v[128:131], a[32:33], v[96:97], 0   // 00000000326C: D3D70080 0A02C120
	v_mfma_i32_16x16x32_i8 v[128:131], a[34:35], v[98:99], v[128:131]// 000000003274: D3D70080 0E02C522
	buffer_load_dwordx4 a[0:3], v25, s[16:19], 0 offen         // 00000000327C: E05C1000 80840019
	v_mfma_i32_16x16x32_i8 v[128:131], a[36:37], v[100:101], v[128:131]// 000000003284: D3D70080 0E02C924
	v_mfma_i32_16x16x32_i8 v[128:131], a[38:39], v[102:103], v[128:131]// 00000000328C: D3D70080 0E02CD26
	buffer_load_dword v20, v1, s[24:27], 0 offen               // 000000003294: E0501000 80061401
	v_mfma_i32_16x16x32_i8 v[132:135], a[40:41], v[96:97], 0   // 00000000329C: D3D70084 0A02C128
	v_mfma_i32_16x16x32_i8 v[132:135], a[42:43], v[98:99], v[132:135]// 0000000032A4: D3D70084 0E12C52A
	buffer_load_dwordx4 a[4:7], v25, s[16:19], 0 offen offset:1024// 0000000032AC: E05C1400 80840419
	v_mfma_i32_16x16x32_i8 v[132:135], a[44:45], v[100:101], v[132:135]// 0000000032B4: D3D70084 0E12C92C
	v_mfma_i32_16x16x32_i8 v[132:135], a[46:47], v[102:103], v[132:135]// 0000000032BC: D3D70084 0E12CD2E
	v_mfma_i32_16x16x32_i8 v[136:139], a[48:49], v[96:97], 0   // 0000000032C4: D3D70088 0A02C130
	v_mfma_i32_16x16x32_i8 v[136:139], a[50:51], v[98:99], v[136:139]// 0000000032CC: D3D70088 0E22C532
	buffer_load_dwordx4 a[8:11], v26, s[16:19], 0 offen        // 0000000032D4: E05C1000 8084081A
	v_mfma_i32_16x16x32_i8 v[136:139], a[52:53], v[100:101], v[136:139]// 0000000032DC: D3D70088 0E22C934
	v_mfma_i32_16x16x32_i8 v[136:139], a[54:55], v[102:103], v[136:139]// 0000000032E4: D3D70088 0E22CD36
	v_mfma_i32_16x16x32_i8 v[140:143], a[56:57], v[96:97], 0   // 0000000032EC: D3D7008C 0A02C138
	v_mfma_i32_16x16x32_i8 v[140:143], a[58:59], v[98:99], v[140:143]// 0000000032F4: D3D7008C 0E32C53A
	buffer_load_dwordx4 a[12:15], v26, s[16:19], 0 offen offset:1024// 0000000032FC: E05C1400 80840C1A
	v_mfma_i32_16x16x32_i8 v[140:143], a[60:61], v[100:101], v[140:143]// 000000003304: D3D7008C 0E32C93C
	v_mfma_i32_16x16x32_i8 v[140:143], a[62:63], v[102:103], v[140:143]// 00000000330C: D3D7008C 0E32CD3E
	buffer_load_dword v52, v2, s[32:35], 0 offen               // 000000003314: E0501000 80083402
	v_mov_b32_dpp v41, v53 row_shr:4 row_mask:0xf bank_mask:0xf// 00000000331C: 7E5202FA FF011435
	v_mov_b32_dpp v42, v53 row_shl:4 row_mask:0xf bank_mask:0xf// 000000003324: 7E5402FA FF010435
	v_cndmask_b32_e64 v248, v53, v41, s[44:45]                 // 00000000332C: D10000F8 00B25335
	v_cndmask_b32_e64 v249, v42, v53, s[44:45]                 // 000000003334: D10000F9 00B26B2A
	v_mov_b32_dpp v41, v73 row_shr:4 row_mask:0xf bank_mask:0xf// 00000000333C: 7E5202FA FF011449
	v_mov_b32_dpp v42, v73 row_shl:4 row_mask:0xf bank_mask:0xf// 000000003344: 7E5402FA FF010449
	v_cndmask_b32_e64 v252, v73, v41, s[44:45]                 // 00000000334C: D10000FC 00B25349
	v_cndmask_b32_e64 v253, v42, v73, s[44:45]                 // 000000003354: D10000FD 00B2932A
	v_or_b32_dpp v128, v136, v128 row_shr:8 row_mask:0xf bank_mask:0xf bound_ctrl:1// 00000000335C: 290100FA FF091888
	v_or_b32_dpp v129, v137, v129 row_shr:8 row_mask:0xf bank_mask:0xf bound_ctrl:1// 000000003364: 290302FA FF091889
	v_or_b32_dpp v130, v138, v130 row_shr:8 row_mask:0xf bank_mask:0xf bound_ctrl:1// 00000000336C: 290504FA FF09188A
	v_or_b32_dpp v131, v139, v131 row_shr:8 row_mask:0xf bank_mask:0xf bound_ctrl:1// 000000003374: 290706FA FF09188B
	v_or_b32_dpp v132, v140, v132 row_shr:8 row_mask:0xf bank_mask:0xf bound_ctrl:1// 00000000337C: 290908FA FF09188C
	v_or_b32_dpp v133, v141, v133 row_shr:8 row_mask:0xf bank_mask:0xf bound_ctrl:1// 000000003384: 290B0AFA FF09188D
	v_or_b32_dpp v134, v142, v134 row_shr:8 row_mask:0xf bank_mask:0xf bound_ctrl:1// 00000000338C: 290D0CFA FF09188E
	v_or_b32_dpp v135, v143, v135 row_shr:8 row_mask:0xf bank_mask:0xf bound_ctrl:1// 000000003394: 290F0EFA FF09188F
	buffer_load_dword v72, v70, s[36:39], 0 offen              // 00000000339C: E0501000 80094846
	v_cvt_f32_i32_e32 v128, v128                               // 0000000033A4: 7F000B80
	v_cvt_f32_i32_e32 v129, v129                               // 0000000033A8: 7F020B81
	v_cvt_f32_i32_e32 v130, v130                               // 0000000033AC: 7F040B82
	v_cvt_f32_i32_e32 v131, v131                               // 0000000033B0: 7F060B83
	v_cvt_f32_i32_e32 v132, v132                               // 0000000033B4: 7F080B84
	v_cvt_f32_i32_e32 v133, v133                               // 0000000033B8: 7F0A0B85
	v_cvt_f32_i32_e32 v134, v134                               // 0000000033BC: 7F0C0B86
	v_cvt_f32_i32_e32 v135, v135                               // 0000000033C0: 7F0E0B87
	v_mul_f32_e32 v128, v54, v128                              // 0000000033C4: 0B010136
	v_mul_f32_e32 v129, v54, v129                              // 0000000033C8: 0B030336
	v_mul_f32_e32 v130, v54, v130                              // 0000000033CC: 0B050536
	v_mul_f32_e32 v131, v54, v131                              // 0000000033D0: 0B070736
	v_mul_f32_e32 v132, v54, v132                              // 0000000033D4: 0B090936
	v_mul_f32_e32 v133, v54, v133                              // 0000000033D8: 0B0B0B36
	v_mul_f32_e32 v134, v54, v134                              // 0000000033DC: 0B0D0D36
	v_mul_f32_e32 v135, v54, v135                              // 0000000033E0: 0B0F0F36
	buffer_load_dwordx4 a[16:19], v27, s[16:19], 0 offen       // 0000000033E4: E05C1000 8084101B
	v_mul_f32_dpp v128, v248, v128 quad_perm:[0,0,0,0] row_mask:0xf bank_mask:0xf// 0000000033EC: 0B0100FA FF0000F8
	v_mul_f32_dpp v129, v248, v129 quad_perm:[1,1,1,1] row_mask:0xf bank_mask:0xf// 0000000033F4: 0B0302FA FF0055F8
	v_mul_f32_dpp v130, v248, v130 quad_perm:[2,2,2,2] row_mask:0xf bank_mask:0xf// 0000000033FC: 0B0504FA FF00AAF8
	v_mul_f32_dpp v131, v248, v131 quad_perm:[3,3,3,3] row_mask:0xf bank_mask:0xf// 000000003404: 0B0706FA FF00FFF8
	v_mul_f32_dpp v132, v249, v132 quad_perm:[0,0,0,0] row_mask:0xf bank_mask:0xf// 00000000340C: 0B0908FA FF0000F9
	v_mul_f32_dpp v133, v249, v133 quad_perm:[1,1,1,1] row_mask:0xf bank_mask:0xf// 000000003414: 0B0B0AFA FF0055F9
	v_mul_f32_dpp v134, v249, v134 quad_perm:[2,2,2,2] row_mask:0xf bank_mask:0xf// 00000000341C: 0B0D0CFA FF00AAF9
	v_mul_f32_dpp v135, v249, v135 quad_perm:[3,3,3,3] row_mask:0xf bank_mask:0xf// 000000003424: 0B0F0EFA FF00FFF9
	buffer_load_dwordx4 a[20:23], v27, s[16:19], 0 offen offset:1024// 00000000342C: E05C1400 8084141B
	v_mov_b32_e32 v62, v128                                    // 000000003434: 7E7C0380
	v_max3_f32 v62, v128, v129, v62                            // 000000003438: D1D3003E 04FB0380
	v_max3_f32 v62, v130, v131, v62                            // 000000003440: D1D3003E 04FB0782
	v_max3_f32 v62, v132, v133, v62                            // 000000003448: D1D3003E 04FB0B84
	v_max3_f32 v62, v134, v135, v62                            // 000000003450: D1D3003E 04FB0F86
	ds_write_b32 v11, v62 offset:16896                         // 000000003458: D81A4200 00003E0B
	buffer_load_dwordx4 a[24:27], v28, s[16:19], 0 offen       // 000000003460: E05C1000 8084181C
	v_mul_u32_u24_dpp v41, v19, v68 row_newbcast:1 row_mask:0xf bank_mask:0xf// 000000003468: 105288FA FF015113
	v_mul_u32_u24_dpp v42, v19, v68 row_newbcast:5 row_mask:0xf bank_mask:0xf// 000000003470: 105488FA FF015513
	v_mul_u32_u24_dpp v43, v19, v68 row_newbcast:9 row_mask:0xf bank_mask:0xf// 000000003478: 105688FA FF015913
	v_mul_u32_u24_dpp v44, v19, v68 row_newbcast:13 row_mask:0xf bank_mask:0xf// 000000003480: 105888FA FF015D13
	v_add_u32_e32 v33, v41, v7                                 // 000000003488: 68420F29
	v_add_u32_e32 v34, v42, v7                                 // 00000000348C: 68440F2A
	v_add_u32_e32 v35, v43, v7                                 // 000000003490: 68460F2B
	v_add_u32_e32 v36, v44, v7                                 // 000000003494: 68480F2C
	s_waitcnt lgkmcnt(0)                                       // 000000003498: BF8CC07F
	s_barrier                                                  // 00000000349C: BF8A0000
	ds_read_b32 v80, v10 offset:16896                          // 0000000034A0: D86C4200 5000000A
	ds_read_b32 v81, v10 offset:16960                          // 0000000034A8: D86C4240 5100000A
	ds_read_b32 v82, v10 offset:17024                          // 0000000034B0: D86C4280 5200000A
	ds_read_b32 v83, v10 offset:17088                          // 0000000034B8: D86C42C0 5300000A
	ds_read_b32 v84, v10 offset:17152                          // 0000000034C0: D86C4300 5400000A
	ds_read_b32 v85, v10 offset:17216                          // 0000000034C8: D86C4340 5500000A
	ds_read_b32 v86, v10 offset:17280                          // 0000000034D0: D86C4380 5600000A
	ds_read_b32 v87, v10 offset:17344                          // 0000000034D8: D86C43C0 5700000A
	ds_read_b32 v88, v10 offset:17408                          // 0000000034E0: D86C4400 5800000A
	ds_read_b32 v89, v10 offset:17472                          // 0000000034E8: D86C4440 5900000A
	ds_read_b32 v90, v10 offset:17536                          // 0000000034F0: D86C4480 5A00000A
	ds_read_b32 v91, v10 offset:17600                          // 0000000034F8: D86C44C0 5B00000A
	ds_read_b32 v92, v10 offset:17664                          // 000000003500: D86C4500 5C00000A
	ds_read_b32 v93, v10 offset:17728                          // 000000003508: D86C4540 5D00000A
	ds_read_b32 v94, v10 offset:17792                          // 000000003510: D86C4580 5E00000A
	ds_read_b32 v95, v10 offset:17856                          // 000000003518: D86C45C0 5F00000A
	buffer_load_dwordx4 a[28:31], v28, s[16:19], 0 offen offset:1024// 000000003520: E05C1400 80841C1C
	v_mul_f32_e32 v224, v63, v224                              // 000000003528: 0BC1C13F
	v_mul_f32_e32 v225, v63, v225                              // 00000000352C: 0BC3C33F
	v_mul_f32_e32 v226, v63, v226                              // 000000003530: 0BC5C53F
	v_mul_f32_e32 v227, v63, v227                              // 000000003534: 0BC7C73F
	v_or_b32_dpp v192, v196, v192 row_shr:8 row_mask:0xf bank_mask:0xf bound_ctrl:1// 000000003538: 298180FA FF0918C4
	v_or_b32_dpp v193, v197, v193 row_shr:8 row_mask:0xf bank_mask:0xf bound_ctrl:1// 000000003540: 298382FA FF0918C5
	v_or_b32_dpp v194, v198, v194 row_shr:8 row_mask:0xf bank_mask:0xf bound_ctrl:1// 000000003548: 298584FA FF0918C6
	v_or_b32_dpp v195, v199, v195 row_shr:8 row_mask:0xf bank_mask:0xf bound_ctrl:1// 000000003550: 298786FA FF0918C7
	s_waitcnt lgkmcnt(0)                                       // 000000003558: BF8CC07F
	v_max3_f32 v62, v80, v81, v62                              // 00000000355C: D1D3003E 04FAA350
	v_max3_f32 v62, v82, v83, v62                              // 000000003564: D1D3003E 04FAA752
	v_max3_f32 v62, v84, v85, v62                              // 00000000356C: D1D3003E 04FAAB54
	v_max3_f32 v62, v86, v87, v62                              // 000000003574: D1D3003E 04FAAF56
	v_max3_f32 v62, v88, v89, v62                              // 00000000357C: D1D3003E 04FAB358
	v_max3_f32 v62, v90, v91, v62                              // 000000003584: D1D3003E 04FAB75A
	v_max3_f32 v62, v92, v93, v62                              // 00000000358C: D1D3003E 04FABB5C
	v_max3_f32 v62, v94, v95, v62                              // 000000003594: D1D3003E 04FABF5E
	buffer_load_dwordx4 a[64:67], v33, s[20:23], 0 offen       // 00000000359C: E05C1000 80854021
	v_cmp_eq_u32_e64 s[40:41], v69, v14                        // 0000000035A4: D0CA0028 00021D45
	s_nop 1                                                    // 0000000035AC: BF800001
	v_mov_b32_dpp v41, v62 row_ror:8 row_mask:0xf bank_mask:0xf// 0000000035B0: 7E5202FA FF01283E
	v_max_f32_e32 v62, v62, v41                                // 0000000035B8: 167C533E
	v_max_f32_e32 v18, v62, v14                                // 0000000035BC: 16241D3E
	v_mul_f32_e32 v67, s64, v18                                // 0000000035C0: 0A862440
	v_fma_f32 v128, v128, s64, -v67                            // 0000000035C4: D1CB0080 850C8180
	v_fma_f32 v129, v129, s64, -v67                            // 0000000035CC: D1CB0081 850C8181
	v_fma_f32 v130, v130, s64, -v67                            // 0000000035D4: D1CB0082 850C8182
	v_fma_f32 v131, v131, s64, -v67                            // 0000000035DC: D1CB0083 850C8183
	v_fma_f32 v132, v132, s64, -v67                            // 0000000035E4: D1CB0084 850C8184
	v_fma_f32 v133, v133, s64, -v67                            // 0000000035EC: D1CB0085 850C8185
	v_fma_f32 v134, v134, s64, -v67                            // 0000000035F4: D1CB0086 850C8186
	v_fma_f32 v135, v135, s64, -v67                            // 0000000035FC: D1CB0087 850C8187
	buffer_load_dwordx4 a[68:71], v34, s[20:23], 0 offen       // 000000003604: E05C1000 80854422
	v_exp_f32_e32 v128, v128                                   // 00000000360C: 7F004180
	v_exp_f32_e32 v129, v129                                   // 000000003610: 7F024181
	v_exp_f32_e32 v130, v130                                   // 000000003614: 7F044182
	v_exp_f32_e32 v131, v131                                   // 000000003618: 7F064183
	v_exp_f32_e32 v132, v132                                   // 00000000361C: 7F084184
	v_exp_f32_e32 v133, v133                                   // 000000003620: 7F0A4185
	v_exp_f32_e32 v134, v134                                   // 000000003624: 7F0C4186
	v_exp_f32_e32 v135, v135                                   // 000000003628: 7F0E4187
	buffer_load_dwordx4 a[72:75], v35, s[20:23], 0 offen       // 00000000362C: E05C1000 80854823
	v_mul_f32_dpp v240, v252, v128 quad_perm:[0,0,0,0] row_mask:0xf bank_mask:0xf// 000000003634: 0BE100FA FF0000FC
	v_mul_f32_dpp v241, v252, v129 quad_perm:[1,1,1,1] row_mask:0xf bank_mask:0xf// 00000000363C: 0BE302FA FF0055FC
	v_mul_f32_dpp v242, v252, v130 quad_perm:[2,2,2,2] row_mask:0xf bank_mask:0xf// 000000003644: 0BE504FA FF00AAFC
	v_mul_f32_dpp v243, v252, v131 quad_perm:[3,3,3,3] row_mask:0xf bank_mask:0xf// 00000000364C: 0BE706FA FF00FFFC
	v_mul_f32_dpp v244, v253, v132 quad_perm:[0,0,0,0] row_mask:0xf bank_mask:0xf// 000000003654: 0BE908FA FF0000FD
	v_mul_f32_dpp v245, v253, v133 quad_perm:[1,1,1,1] row_mask:0xf bank_mask:0xf// 00000000365C: 0BEB0AFA FF0055FD
	v_mul_f32_dpp v246, v253, v134 quad_perm:[2,2,2,2] row_mask:0xf bank_mask:0xf// 000000003664: 0BED0CFA FF00AAFD
	v_mul_f32_dpp v247, v253, v135 quad_perm:[3,3,3,3] row_mask:0xf bank_mask:0xf// 00000000366C: 0BEF0EFA FF00FFFD
	v_mov_b32_e32 v62, 0x358637bd                              // 000000003674: 7E7C02FF 358637BD
	v_max3_f32 v62, |v240|, |v241|, v62                        // 00000000367C: D1D3033E 04FBE3F0
	v_max3_f32 v62, |v242|, |v243|, v62                        // 000000003684: D1D3033E 04FBE7F2
	v_max3_f32 v62, |v244|, |v245|, v62                        // 00000000368C: D1D3033E 04FBEBF4
	v_max3_f32 v62, |v246|, |v247|, v62                        // 000000003694: D1D3033E 04FBEFF6
	buffer_load_dwordx4 a[76:79], v36, s[20:23], 0 offen       // 00000000369C: E05C1000 80854C24
	ds_write_b32 v11, v62 offset:20992                         // 0000000036A4: D81A5200 00003E0B
	v_sub_f32_e32 v63, v14, v18                                // 0000000036AC: 047E250E
	v_cndmask_b32_e64 v63, v63, 0, s[40:41]                    // 0000000036B0: D100003F 00A1013F
	v_mov_b32_e32 v14, v18                                     // 0000000036B8: 7E1C0312
	v_mul_f32_e32 v63, s64, v63                                // 0000000036BC: 0A7E7E40
	v_exp_f32_e32 v63, v63                                     // 0000000036C0: 7E7E413F
	s_waitcnt lgkmcnt(0)                                       // 0000000036C4: BF8CC07F
	s_barrier                                                  // 0000000036C8: BF8A0000
	ds_read_b32 v80, v10 offset:20992                          // 0000000036CC: D86C5200 5000000A
	ds_read_b32 v81, v10 offset:21056                          // 0000000036D4: D86C5240 5100000A
	ds_read_b32 v82, v10 offset:21120                          // 0000000036DC: D86C5280 5200000A
	ds_read_b32 v83, v10 offset:21184                          // 0000000036E4: D86C52C0 5300000A
	ds_read_b32 v84, v10 offset:21248                          // 0000000036EC: D86C5300 5400000A
	ds_read_b32 v85, v10 offset:21312                          // 0000000036F4: D86C5340 5500000A
	ds_read_b32 v86, v10 offset:21376                          // 0000000036FC: D86C5380 5600000A
	ds_read_b32 v87, v10 offset:21440                          // 000000003704: D86C53C0 5700000A
	ds_read_b32 v88, v10 offset:21504                          // 00000000370C: D86C5400 5800000A
	ds_read_b32 v89, v10 offset:21568                          // 000000003714: D86C5440 5900000A
	ds_read_b32 v90, v10 offset:21632                          // 00000000371C: D86C5480 5A00000A
	ds_read_b32 v91, v10 offset:21696                          // 000000003724: D86C54C0 5B00000A
	ds_read_b32 v92, v10 offset:21760                          // 00000000372C: D86C5500 5C00000A
	ds_read_b32 v93, v10 offset:21824                          // 000000003734: D86C5540 5D00000A
	ds_read_b32 v94, v10 offset:21888                          // 00000000373C: D86C5580 5E00000A
	ds_read_b32 v95, v10 offset:21952                          // 000000003744: D86C55C0 5F00000A
	v_mul_f32_e32 v47, v63, v47                                // 00000000374C: 0A5E5F3F
	v_mov_b32_e32 v51, v128                                    // 000000003750: 7E660380
	v_add_f32_e32 v51, v129, v51                               // 000000003754: 02666781
	v_add_f32_e32 v51, v130, v51                               // 000000003758: 02666782
	v_add_f32_e32 v51, v131, v51                               // 00000000375C: 02666783
	v_add_f32_e32 v51, v132, v51                               // 000000003760: 02666784
	v_add_f32_e32 v51, v133, v51                               // 000000003764: 02666785
	;; [unrolled: 1-line block ×3, first 2 shown]
	v_add_f32_e32 v51, v135, v51                               // 00000000376C: 02666787
	v_add_f32_e32 v47, v51, v47                                // 000000003770: 025E5F33
	s_waitcnt lgkmcnt(0)                                       // 000000003774: BF8CC07F
	v_max3_f32 v62, |v80|, |v81|, v62                          // 000000003778: D1D3033E 04FAA350
	v_max3_f32 v62, |v82|, |v83|, v62                          // 000000003780: D1D3033E 04FAA752
	v_max3_f32 v62, |v84|, |v85|, v62                          // 000000003788: D1D3033E 04FAAB54
	v_max3_f32 v62, |v86|, |v87|, v62                          // 000000003790: D1D3033E 04FAAF56
	v_max3_f32 v62, |v88|, |v89|, v62                          // 000000003798: D1D3033E 04FAB358
	v_max3_f32 v62, |v90|, |v91|, v62                          // 0000000037A0: D1D3033E 04FAB75A
	v_max3_f32 v62, |v92|, |v93|, v62                          // 0000000037A8: D1D3033E 04FABB5C
	v_max3_f32 v62, |v94|, |v95|, v62                          // 0000000037B0: D1D3033E 04FABF5E
	s_nop 2                                                    // 0000000037B8: BF800002
	v_mov_b32_dpp v41, v62 row_ror:8 row_mask:0xf bank_mask:0xf// 0000000037BC: 7E5202FA FF01283E
	v_max_f32_e32 v62, v62, v41                                // 0000000037C4: 167C533E
	v_rcp_f32_e32 v62, v62                                     // 0000000037C8: 7E7C453E
	s_nop 1                                                    // 0000000037CC: BF800001
	v_mul_f32_e32 v62, 0x42fe0000, v62                         // 0000000037D0: 0A7C7CFF 42FE0000
	v_mul_f32_e32 v128, v62, v240                              // 0000000037D8: 0B01E13E
	v_mul_f32_e32 v129, v62, v241                              // 0000000037DC: 0B03E33E
	v_mul_f32_e32 v130, v62, v242                              // 0000000037E0: 0B05E53E
	v_mul_f32_e32 v131, v62, v243                              // 0000000037E4: 0B07E73E
	v_mul_f32_e32 v132, v62, v244                              // 0000000037E8: 0B09E93E
	v_mul_f32_e32 v133, v62, v245                              // 0000000037EC: 0B0BEB3E
	v_mul_f32_e32 v134, v62, v246                              // 0000000037F0: 0B0DED3E
	v_mul_f32_e32 v135, v62, v247                              // 0000000037F4: 0B0FEF3E
	v_cvt_i32_f32_e32 v128, v128                               // 0000000037F8: 7F001180
	v_cvt_i32_f32_e32 v129, v129                               // 0000000037FC: 7F021181
	v_cvt_i32_f32_e32 v130, v130                               // 000000003800: 7F041182
	v_cvt_i32_f32_e32 v131, v131                               // 000000003804: 7F061183
	v_cvt_i32_f32_e32 v132, v132                               // 000000003808: 7F081184
	v_cvt_i32_f32_e32 v133, v133                               // 00000000380C: 7F0A1185
	v_cvt_i32_f32_e32 v134, v134                               // 000000003810: 7F0C1186
	v_cvt_i32_f32_e32 v135, v135                               // 000000003814: 7F0E1187
	v_perm_b32 v128, v129, v128, s53                           // 000000003818: D1ED0080 00D70181
	v_perm_b32 v128, v130, v128, s54                           // 000000003820: D1ED0080 00DB0182
	v_perm_b32 v128, v131, v128, s55                           // 000000003828: D1ED0080 00DF0183
	v_perm_b32 v129, v133, v132, s53                           // 000000003830: D1ED0081 00D70985
	v_perm_b32 v129, v134, v129, s54                           // 000000003838: D1ED0081 00DB0386
	v_perm_b32 v129, v135, v129, s55                           // 000000003840: D1ED0081 00DF0387
	ds_write_b32 v13, v128 offset:25088                        // 000000003848: D81A6200 0000800D
	ds_write_b32 v13, v129 offset:26112                        // 000000003850: D81A6600 0000810D
	v_cvt_f32_i32_e32 v192, v192                               // 000000003858: 7F800BC0
	v_cvt_f32_i32_e32 v193, v193                               // 00000000385C: 7F820BC1
	v_cvt_f32_i32_e32 v194, v194                               // 000000003860: 7F840BC2
	v_cvt_f32_i32_e32 v195, v195                               // 000000003864: 7F860BC3
	v_mul_f32_e32 v192, v58, v192                              // 000000003868: 0B81813A
	v_mul_f32_e32 v193, v58, v193                              // 00000000386C: 0B83833A
	v_mul_f32_e32 v194, v58, v194                              // 000000003870: 0B85853A
	v_mul_f32_e32 v195, v58, v195                              // 000000003874: 0B87873A
	v_rcp_f32_e32 v58, v62                                     // 000000003878: 7E74453E
	s_waitcnt lgkmcnt(0)                                       // 00000000387C: BF8CC07F
	s_barrier                                                  // 000000003880: BF8A0000
	ds_read_b64 v[128:129], v12 offset:25088                   // 000000003884: D8EC6200 8000000C
	ds_read_b64 v[130:131], v12 offset:25216                   // 00000000388C: D8EC6280 8200000C
	ds_read_b64 v[132:133], v12 offset:26112                   // 000000003894: D8EC6600 8400000C
	ds_read_b64 v[134:135], v12 offset:26240                   // 00000000389C: D8EC6680 8600000C
	v_add_f32_e32 v224, v224, v192                             // 0000000038A4: 03C181E0
	v_add_f32_e32 v225, v225, v193                             // 0000000038A8: 03C383E1
	v_add_f32_e32 v226, v226, v194                             // 0000000038AC: 03C585E2
	v_add_f32_e32 v227, v227, v195                             // 0000000038B0: 03C787E3
	s_waitcnt lgkmcnt(3)                                       // 0000000038B4: BF8CC37F
	v_mov_b32_dpp v136, v128 row_shl:8 row_mask:0xf bank_mask:0xf bound_ctrl:1// 0000000038B8: 7F1002FA FF090880
	v_and_b32_e32 v128, v128, v9                               // 0000000038C0: 27001380
	v_mov_b32_dpp v137, v129 row_shl:8 row_mask:0xf bank_mask:0xf bound_ctrl:1// 0000000038C4: 7F1202FA FF090881
	v_and_b32_e32 v129, v129, v9                               // 0000000038CC: 27021381
	s_waitcnt lgkmcnt(2)                                       // 0000000038D0: BF8CC27F
	v_mov_b32_dpp v138, v130 row_shl:8 row_mask:0xf bank_mask:0xf bound_ctrl:1// 0000000038D4: 7F1402FA FF090882
	v_and_b32_e32 v130, v130, v9                               // 0000000038DC: 27041382
	v_mov_b32_dpp v139, v131 row_shl:8 row_mask:0xf bank_mask:0xf bound_ctrl:1// 0000000038E0: 7F1602FA FF090883
	v_and_b32_e32 v131, v131, v9                               // 0000000038E8: 27061383
	s_waitcnt lgkmcnt(1)                                       // 0000000038EC: BF8CC17F
	v_mov_b32_dpp v140, v132 row_shl:8 row_mask:0xf bank_mask:0xf bound_ctrl:1// 0000000038F0: 7F1802FA FF090884
	v_and_b32_e32 v132, v132, v9                               // 0000000038F8: 27081384
	v_mov_b32_dpp v141, v133 row_shl:8 row_mask:0xf bank_mask:0xf bound_ctrl:1// 0000000038FC: 7F1A02FA FF090885
	v_and_b32_e32 v133, v133, v9                               // 000000003904: 270A1385
	s_waitcnt lgkmcnt(0)                                       // 000000003908: BF8CC07F
	v_mov_b32_dpp v142, v134 row_shl:8 row_mask:0xf bank_mask:0xf bound_ctrl:1// 00000000390C: 7F1C02FA FF090886
	v_and_b32_e32 v134, v134, v9                               // 000000003914: 270C1386
	v_mov_b32_dpp v143, v135 row_shl:8 row_mask:0xf bank_mask:0xf bound_ctrl:1// 000000003918: 7F1E02FA FF090887
	v_and_b32_e32 v135, v135, v9                               // 000000003920: 270E1387
	s_waitcnt vmcnt(15)                                        // 000000003924: BF8C0F7F
	v_mfma_i32_16x16x32_i8 v[192:195], a[96:97], v[128:129], 0 // 000000003928: D3D700C0 0A030160
	v_mfma_i32_16x16x32_i8 v[192:195], a[98:99], v[130:131], v[192:195]// 000000003930: D3D700C0 0F030562
	buffer_load_dwordx4 a[80:83], v33, s[20:23], 0 offen offset:1024// 000000003938: E05C1400 80855021
	v_mfma_i32_16x16x32_i8 v[192:195], a[100:101], v[132:133], v[192:195]// 000000003940: D3D700C0 0F030964
	v_mfma_i32_16x16x32_i8 v[192:195], a[102:103], v[134:135], v[192:195]// 000000003948: D3D700C0 0F030D66
	v_mfma_i32_16x16x32_i8 v[192:195], a[104:105], v[136:137], v[192:195]// 000000003950: D3D700C0 0F031168
	v_mfma_i32_16x16x32_i8 v[192:195], a[106:107], v[138:139], v[192:195]// 000000003958: D3D700C0 0F03156A
	buffer_load_dwordx4 a[84:87], v34, s[20:23], 0 offen offset:1024// 000000003960: E05C1400 80855422
	v_mfma_i32_16x16x32_i8 v[192:195], a[108:109], v[140:141], v[192:195]// 000000003968: D3D700C0 0F03196C
	v_mfma_i32_16x16x32_i8 v[192:195], a[110:111], v[142:143], v[192:195]// 000000003970: D3D700C0 0F031D6E
	v_mfma_i32_16x16x32_i8 v[196:199], a[112:113], v[128:129], 0// 000000003978: D3D700C4 0A030170
	v_mfma_i32_16x16x32_i8 v[196:199], a[114:115], v[130:131], v[196:199]// 000000003980: D3D700C4 0F130572
	buffer_load_dwordx4 a[88:91], v35, s[20:23], 0 offen offset:1024// 000000003988: E05C1400 80855823
	v_mfma_i32_16x16x32_i8 v[196:199], a[116:117], v[132:133], v[196:199]// 000000003990: D3D700C4 0F130974
	v_mfma_i32_16x16x32_i8 v[196:199], a[118:119], v[134:135], v[196:199]// 000000003998: D3D700C4 0F130D76
	v_mfma_i32_16x16x32_i8 v[196:199], a[120:121], v[136:137], v[196:199]// 0000000039A0: D3D700C4 0F131178
	v_mfma_i32_16x16x32_i8 v[196:199], a[122:123], v[138:139], v[196:199]// 0000000039A8: D3D700C4 0F13157A
	buffer_load_dwordx4 a[92:95], v36, s[20:23], 0 offen offset:1024// 0000000039B0: E05C1400 80855C24
	v_mfma_i32_16x16x32_i8 v[196:199], a[124:125], v[140:141], v[196:199]// 0000000039B8: D3D700C4 0F13197C
	s_lshr_b32 s57, s70, 4                                     // 0000000039C0: 8F398446
	s_add_u32 s57, 48, s57                                     // 0000000039C4: 803939B0
	v_mfma_i32_16x16x32_i8 v[196:199], a[126:127], v[142:143], v[196:199]// 0000000039C8: D3D700C4 0F131D7E
	s_cmp_ge_u32 s57, s73                                      // 0000000039D0: BF094939
	s_cselect_b32 s56, 0, s56                                  // 0000000039D4: 85383880
	v_add_u32_e32 v1, s56, v1                                  // 0000000039D8: 68020238
	s_addk_i32 s70, 0x100                                      // 0000000039DC: B7460100
	s_cmp_lt_i32 s70, s71                                      // 0000000039E0: BF044746
	s_cbranch_scc0 label_05FB                                  // 0000000039E4: BF840001
	s_branch label_0216                                        // 0000000039E8: BF82FC1B

00000000000039ec <label_05FB>:
	s_nop 0                                                    // 0000000039EC: BF800000
	s_nop 0                                                    // 0000000039F0: BF800000
	s_branch label_09E3                                        // 0000000039F4: BF8203E5

00000000000039f8 <label_05FE>:
	s_waitcnt vmcnt(8) lgkmcnt(0)                              // 0000000039F8: BF8C0078
	v_mul_u32_u24_dpp v41, v20, v68 row_newbcast:0 row_mask:0xf bank_mask:0xf// 0000000039FC: 105288FA FF015014
	v_mul_u32_u24_dpp v42, v20, v68 row_newbcast:4 row_mask:0xf bank_mask:0xf// 000000003A04: 105488FA FF015414
	v_mul_u32_u24_dpp v43, v20, v68 row_newbcast:8 row_mask:0xf bank_mask:0xf// 000000003A0C: 105688FA FF015814
	v_mul_u32_u24_dpp v44, v20, v68 row_newbcast:12 row_mask:0xf bank_mask:0xf// 000000003A14: 105888FA FF015C14
	v_add_u32_e32 v29, v41, v6                                 // 000000003A1C: 683A0D29
	v_add_u32_e32 v30, v42, v6                                 // 000000003A20: 683C0D2A
	v_add_u32_e32 v31, v43, v6                                 // 000000003A24: 683E0D2B
	v_add_u32_e32 v32, v44, v6                                 // 000000003A28: 68400D2C
	v_mul_u32_u24_dpp v41, v20, v78 quad_perm:[0,0,0,0] row_mask:0xf bank_mask:0xf// 000000003A2C: 10529CFA FF000014
	v_add_u32_e32 v3, v41, v74                                 // 000000003A34: 68069529
	v_mul_u32_u24_dpp v41, v20, v78 quad_perm:[0,0,0,0] row_mask:0xf bank_mask:0xf// 000000003A38: 10529CFA FF000014
	v_add_u32_e32 v71, v41, v75                                // 000000003A40: 688E9729
	v_mfma_i32_16x16x32_i8 v[128:131], a[0:1], v[96:97], 0     // 000000003A44: D3D70080 0A02C100
	buffer_load_dwordx4 a[32:35], v29, s[16:19], 0 offen       // 000000003A4C: E05C1000 8084201D
	v_mfma_i32_16x16x32_i8 v[128:131], a[2:3], v[98:99], v[128:131]// 000000003A54: D3D70080 0E02C502
	v_mfma_i32_16x16x32_i8 v[128:131], a[4:5], v[100:101], v[128:131]// 000000003A5C: D3D70080 0E02C904
	buffer_load_dword v19, v1, s[24:27], 0 offen               // 000000003A64: E0501000 80061301
	v_mfma_i32_16x16x32_i8 v[128:131], a[6:7], v[102:103], v[128:131]// 000000003A6C: D3D70080 0E02CD06
	v_mfma_i32_16x16x32_i8 v[132:135], a[8:9], v[96:97], 0     // 000000003A74: D3D70084 0A02C108
	buffer_load_dwordx4 a[36:39], v29, s[16:19], 0 offen offset:1024// 000000003A7C: E05C1400 8084241D
	v_mfma_i32_16x16x32_i8 v[132:135], a[10:11], v[98:99], v[132:135]// 000000003A84: D3D70084 0E12C50A
	v_mfma_i32_16x16x32_i8 v[132:135], a[12:13], v[100:101], v[132:135]// 000000003A8C: D3D70084 0E12C90C
	v_mfma_i32_16x16x32_i8 v[132:135], a[14:15], v[102:103], v[132:135]// 000000003A94: D3D70084 0E12CD0E
	v_mfma_i32_16x16x32_i8 v[136:139], a[16:17], v[96:97], 0   // 000000003A9C: D3D70088 0A02C110
	buffer_load_dwordx4 a[40:43], v30, s[16:19], 0 offen       // 000000003AA4: E05C1000 8084281E
	v_mfma_i32_16x16x32_i8 v[136:139], a[18:19], v[98:99], v[136:139]// 000000003AAC: D3D70088 0E22C512
	v_mfma_i32_16x16x32_i8 v[136:139], a[20:21], v[100:101], v[136:139]// 000000003AB4: D3D70088 0E22C914
	v_mfma_i32_16x16x32_i8 v[136:139], a[22:23], v[102:103], v[136:139]// 000000003ABC: D3D70088 0E22CD16
	v_mfma_i32_16x16x32_i8 v[140:143], a[24:25], v[96:97], 0   // 000000003AC4: D3D7008C 0A02C118
	buffer_load_dwordx4 a[44:47], v30, s[16:19], 0 offen offset:1024// 000000003ACC: E05C1400 80842C1E
	v_mfma_i32_16x16x32_i8 v[140:143], a[26:27], v[98:99], v[140:143]// 000000003AD4: D3D7008C 0E32C51A
	v_mfma_i32_16x16x32_i8 v[140:143], a[28:29], v[100:101], v[140:143]// 000000003ADC: D3D7008C 0E32C91C
	v_mfma_i32_16x16x32_i8 v[140:143], a[30:31], v[102:103], v[140:143]// 000000003AE4: D3D7008C 0E32CD1E
	buffer_load_dword v53, v3, s[32:35], 0 offen               // 000000003AEC: E0501000 80083503
	v_mov_b32_dpp v41, v52 row_shr:4 row_mask:0xf bank_mask:0xf// 000000003AF4: 7E5202FA FF011434
	v_mov_b32_dpp v42, v52 row_shl:4 row_mask:0xf bank_mask:0xf// 000000003AFC: 7E5402FA FF010434
	v_cndmask_b32_e64 v248, v52, v41, s[44:45]                 // 000000003B04: D10000F8 00B25334
	v_cndmask_b32_e64 v249, v42, v52, s[44:45]                 // 000000003B0C: D10000F9 00B2692A
	v_mov_b32_dpp v41, v72 row_shr:4 row_mask:0xf bank_mask:0xf// 000000003B14: 7E5202FA FF011448
	v_mov_b32_dpp v42, v72 row_shl:4 row_mask:0xf bank_mask:0xf// 000000003B1C: 7E5402FA FF010448
	v_cndmask_b32_e64 v252, v72, v41, s[44:45]                 // 000000003B24: D10000FC 00B25348
	v_cndmask_b32_e64 v253, v42, v72, s[44:45]                 // 000000003B2C: D10000FD 00B2912A
	v_or_b32_dpp v128, v136, v128 row_shr:8 row_mask:0xf bank_mask:0xf bound_ctrl:1// 000000003B34: 290100FA FF091888
	v_or_b32_dpp v129, v137, v129 row_shr:8 row_mask:0xf bank_mask:0xf bound_ctrl:1// 000000003B3C: 290302FA FF091889
	v_or_b32_dpp v130, v138, v130 row_shr:8 row_mask:0xf bank_mask:0xf bound_ctrl:1// 000000003B44: 290504FA FF09188A
	v_or_b32_dpp v131, v139, v131 row_shr:8 row_mask:0xf bank_mask:0xf bound_ctrl:1// 000000003B4C: 290706FA FF09188B
	v_or_b32_dpp v132, v140, v132 row_shr:8 row_mask:0xf bank_mask:0xf bound_ctrl:1// 000000003B54: 290908FA FF09188C
	v_or_b32_dpp v133, v141, v133 row_shr:8 row_mask:0xf bank_mask:0xf bound_ctrl:1// 000000003B5C: 290B0AFA FF09188D
	v_or_b32_dpp v134, v142, v134 row_shr:8 row_mask:0xf bank_mask:0xf bound_ctrl:1// 000000003B64: 290D0CFA FF09188E
	v_or_b32_dpp v135, v143, v135 row_shr:8 row_mask:0xf bank_mask:0xf bound_ctrl:1// 000000003B6C: 290F0EFA FF09188F
	buffer_load_dword v73, v71, s[36:39], 0 offen              // 000000003B74: E0501000 80094947
	v_cvt_f32_i32_e32 v128, v128                               // 000000003B7C: 7F000B80
	v_cvt_f32_i32_e32 v129, v129                               // 000000003B80: 7F020B81
	v_cvt_f32_i32_e32 v130, v130                               // 000000003B84: 7F040B82
	v_cvt_f32_i32_e32 v131, v131                               // 000000003B88: 7F060B83
	v_cvt_f32_i32_e32 v132, v132                               // 000000003B8C: 7F080B84
	v_cvt_f32_i32_e32 v133, v133                               // 000000003B90: 7F0A0B85
	v_cvt_f32_i32_e32 v134, v134                               // 000000003B94: 7F0C0B86
	v_cvt_f32_i32_e32 v135, v135                               // 000000003B98: 7F0E0B87
	v_mul_f32_e32 v128, v54, v128                              // 000000003B9C: 0B010136
	v_mul_f32_e32 v129, v54, v129                              // 000000003BA0: 0B030336
	v_mul_f32_e32 v130, v54, v130                              // 000000003BA4: 0B050536
	v_mul_f32_e32 v131, v54, v131                              // 000000003BA8: 0B070736
	v_mul_f32_e32 v132, v54, v132                              // 000000003BAC: 0B090936
	v_mul_f32_e32 v133, v54, v133                              // 000000003BB0: 0B0B0B36
	v_mul_f32_e32 v134, v54, v134                              // 000000003BB4: 0B0D0D36
	v_mul_f32_e32 v135, v54, v135                              // 000000003BB8: 0B0F0F36
	buffer_load_dwordx4 a[48:51], v31, s[16:19], 0 offen       // 000000003BBC: E05C1000 8084301F
	v_mul_f32_dpp v128, v248, v128 quad_perm:[0,0,0,0] row_mask:0xf bank_mask:0xf// 000000003BC4: 0B0100FA FF0000F8
	v_mul_f32_dpp v129, v248, v129 quad_perm:[1,1,1,1] row_mask:0xf bank_mask:0xf// 000000003BCC: 0B0302FA FF0055F8
	v_mul_f32_dpp v130, v248, v130 quad_perm:[2,2,2,2] row_mask:0xf bank_mask:0xf// 000000003BD4: 0B0504FA FF00AAF8
	v_mul_f32_dpp v131, v248, v131 quad_perm:[3,3,3,3] row_mask:0xf bank_mask:0xf// 000000003BDC: 0B0706FA FF00FFF8
	v_mul_f32_dpp v132, v249, v132 quad_perm:[0,0,0,0] row_mask:0xf bank_mask:0xf// 000000003BE4: 0B0908FA FF0000F9
	v_mul_f32_dpp v133, v249, v133 quad_perm:[1,1,1,1] row_mask:0xf bank_mask:0xf// 000000003BEC: 0B0B0AFA FF0055F9
	v_mul_f32_dpp v134, v249, v134 quad_perm:[2,2,2,2] row_mask:0xf bank_mask:0xf// 000000003BF4: 0B0D0CFA FF00AAF9
	v_mul_f32_dpp v135, v249, v135 quad_perm:[3,3,3,3] row_mask:0xf bank_mask:0xf// 000000003BFC: 0B0F0EFA FF00FFF9
	buffer_load_dwordx4 a[52:55], v31, s[16:19], 0 offen offset:1024// 000000003C04: E05C1400 8084341F
	v_mov_b32_e32 v62, v128                                    // 000000003C0C: 7E7C0380
	v_max3_f32 v62, v128, v129, v62                            // 000000003C10: D1D3003E 04FB0380
	v_max3_f32 v62, v130, v131, v62                            // 000000003C18: D1D3003E 04FB0782
	v_max3_f32 v62, v132, v133, v62                            // 000000003C20: D1D3003E 04FB0B84
	v_max3_f32 v62, v134, v135, v62                            // 000000003C28: D1D3003E 04FB0F86
	ds_write_b32 v11, v62 offset:16896                         // 000000003C30: D81A4200 00003E0B
	buffer_load_dwordx4 a[56:59], v32, s[16:19], 0 offen       // 000000003C38: E05C1000 80843820
	v_mul_u32_u24_dpp v41, v20, v68 row_newbcast:1 row_mask:0xf bank_mask:0xf// 000000003C40: 105288FA FF015114
	v_mul_u32_u24_dpp v42, v20, v68 row_newbcast:5 row_mask:0xf bank_mask:0xf// 000000003C48: 105488FA FF015514
	v_mul_u32_u24_dpp v43, v20, v68 row_newbcast:9 row_mask:0xf bank_mask:0xf// 000000003C50: 105688FA FF015914
	v_mul_u32_u24_dpp v44, v20, v68 row_newbcast:13 row_mask:0xf bank_mask:0xf// 000000003C58: 105888FA FF015D14
	v_add_u32_e32 v37, v41, v7                                 // 000000003C60: 684A0F29
	v_add_u32_e32 v38, v42, v7                                 // 000000003C64: 684C0F2A
	v_add_u32_e32 v39, v43, v7                                 // 000000003C68: 684E0F2B
	v_add_u32_e32 v40, v44, v7                                 // 000000003C6C: 68500F2C
	s_waitcnt lgkmcnt(0)                                       // 000000003C70: BF8CC07F
	s_barrier                                                  // 000000003C74: BF8A0000
	ds_read_b32 v80, v10 offset:16896                          // 000000003C78: D86C4200 5000000A
	ds_read_b32 v81, v10 offset:16960                          // 000000003C80: D86C4240 5100000A
	ds_read_b32 v82, v10 offset:17024                          // 000000003C88: D86C4280 5200000A
	ds_read_b32 v83, v10 offset:17088                          // 000000003C90: D86C42C0 5300000A
	ds_read_b32 v84, v10 offset:17152                          // 000000003C98: D86C4300 5400000A
	ds_read_b32 v85, v10 offset:17216                          // 000000003CA0: D86C4340 5500000A
	ds_read_b32 v86, v10 offset:17280                          // 000000003CA8: D86C4380 5600000A
	ds_read_b32 v87, v10 offset:17344                          // 000000003CB0: D86C43C0 5700000A
	ds_read_b32 v88, v10 offset:17408                          // 000000003CB8: D86C4400 5800000A
	ds_read_b32 v89, v10 offset:17472                          // 000000003CC0: D86C4440 5900000A
	ds_read_b32 v90, v10 offset:17536                          // 000000003CC8: D86C4480 5A00000A
	ds_read_b32 v91, v10 offset:17600                          // 000000003CD0: D86C44C0 5B00000A
	ds_read_b32 v92, v10 offset:17664                          // 000000003CD8: D86C4500 5C00000A
	ds_read_b32 v93, v10 offset:17728                          // 000000003CE0: D86C4540 5D00000A
	ds_read_b32 v94, v10 offset:17792                          // 000000003CE8: D86C4580 5E00000A
	ds_read_b32 v95, v10 offset:17856                          // 000000003CF0: D86C45C0 5F00000A
	buffer_load_dwordx4 a[60:63], v32, s[16:19], 0 offen offset:1024// 000000003CF8: E05C1400 80843C20
	v_mul_f32_e32 v224, v63, v224                              // 000000003D00: 0BC1C13F
	v_mul_f32_e32 v225, v63, v225                              // 000000003D04: 0BC3C33F
	v_mul_f32_e32 v226, v63, v226                              // 000000003D08: 0BC5C53F
	v_mul_f32_e32 v227, v63, v227                              // 000000003D0C: 0BC7C73F
	v_or_b32_dpp v192, v196, v192 row_shr:8 row_mask:0xf bank_mask:0xf bound_ctrl:1// 000000003D10: 298180FA FF0918C4
	v_or_b32_dpp v193, v197, v193 row_shr:8 row_mask:0xf bank_mask:0xf bound_ctrl:1// 000000003D18: 298382FA FF0918C5
	v_or_b32_dpp v194, v198, v194 row_shr:8 row_mask:0xf bank_mask:0xf bound_ctrl:1// 000000003D20: 298584FA FF0918C6
	v_or_b32_dpp v195, v199, v195 row_shr:8 row_mask:0xf bank_mask:0xf bound_ctrl:1// 000000003D28: 298786FA FF0918C7
	s_waitcnt lgkmcnt(0)                                       // 000000003D30: BF8CC07F
	v_max3_f32 v62, v80, v81, v62                              // 000000003D34: D1D3003E 04FAA350
	v_max3_f32 v62, v82, v83, v62                              // 000000003D3C: D1D3003E 04FAA752
	v_max3_f32 v62, v84, v85, v62                              // 000000003D44: D1D3003E 04FAAB54
	v_max3_f32 v62, v86, v87, v62                              // 000000003D4C: D1D3003E 04FAAF56
	v_max3_f32 v62, v88, v89, v62                              // 000000003D54: D1D3003E 04FAB358
	v_max3_f32 v62, v90, v91, v62                              // 000000003D5C: D1D3003E 04FAB75A
	v_max3_f32 v62, v92, v93, v62                              // 000000003D64: D1D3003E 04FABB5C
	v_max3_f32 v62, v94, v95, v62                              // 000000003D6C: D1D3003E 04FABF5E
	buffer_load_dwordx4 a[96:99], v37, s[20:23], 0 offen       // 000000003D74: E05C1000 80856025
	v_cmp_eq_u32_e64 s[40:41], v69, v14                        // 000000003D7C: D0CA0028 00021D45
	s_nop 1                                                    // 000000003D84: BF800001
	v_mov_b32_dpp v41, v62 row_ror:8 row_mask:0xf bank_mask:0xf// 000000003D88: 7E5202FA FF01283E
	v_max_f32_e32 v62, v62, v41                                // 000000003D90: 167C533E
	v_max_f32_e32 v18, v62, v14                                // 000000003D94: 16241D3E
	v_mul_f32_e32 v67, s64, v18                                // 000000003D98: 0A862440
	v_fma_f32 v128, v128, s64, -v67                            // 000000003D9C: D1CB0080 850C8180
	v_fma_f32 v129, v129, s64, -v67                            // 000000003DA4: D1CB0081 850C8181
	v_fma_f32 v130, v130, s64, -v67                            // 000000003DAC: D1CB0082 850C8182
	v_fma_f32 v131, v131, s64, -v67                            // 000000003DB4: D1CB0083 850C8183
	v_fma_f32 v132, v132, s64, -v67                            // 000000003DBC: D1CB0084 850C8184
	v_fma_f32 v133, v133, s64, -v67                            // 000000003DC4: D1CB0085 850C8185
	v_fma_f32 v134, v134, s64, -v67                            // 000000003DCC: D1CB0086 850C8186
	v_fma_f32 v135, v135, s64, -v67                            // 000000003DD4: D1CB0087 850C8187
	buffer_load_dwordx4 a[100:103], v38, s[20:23], 0 offen     // 000000003DDC: E05C1000 80856426
	v_exp_f32_e32 v128, v128                                   // 000000003DE4: 7F004180
	v_exp_f32_e32 v129, v129                                   // 000000003DE8: 7F024181
	v_exp_f32_e32 v130, v130                                   // 000000003DEC: 7F044182
	v_exp_f32_e32 v131, v131                                   // 000000003DF0: 7F064183
	v_exp_f32_e32 v132, v132                                   // 000000003DF4: 7F084184
	v_exp_f32_e32 v133, v133                                   // 000000003DF8: 7F0A4185
	v_exp_f32_e32 v134, v134                                   // 000000003DFC: 7F0C4186
	v_exp_f32_e32 v135, v135                                   // 000000003E00: 7F0E4187
	buffer_load_dwordx4 a[104:107], v39, s[20:23], 0 offen     // 000000003E04: E05C1000 80856827
	v_mul_f32_dpp v240, v252, v128 quad_perm:[0,0,0,0] row_mask:0xf bank_mask:0xf// 000000003E0C: 0BE100FA FF0000FC
	v_mul_f32_dpp v241, v252, v129 quad_perm:[1,1,1,1] row_mask:0xf bank_mask:0xf// 000000003E14: 0BE302FA FF0055FC
	v_mul_f32_dpp v242, v252, v130 quad_perm:[2,2,2,2] row_mask:0xf bank_mask:0xf// 000000003E1C: 0BE504FA FF00AAFC
	v_mul_f32_dpp v243, v252, v131 quad_perm:[3,3,3,3] row_mask:0xf bank_mask:0xf// 000000003E24: 0BE706FA FF00FFFC
	v_mul_f32_dpp v244, v253, v132 quad_perm:[0,0,0,0] row_mask:0xf bank_mask:0xf// 000000003E2C: 0BE908FA FF0000FD
	v_mul_f32_dpp v245, v253, v133 quad_perm:[1,1,1,1] row_mask:0xf bank_mask:0xf// 000000003E34: 0BEB0AFA FF0055FD
	v_mul_f32_dpp v246, v253, v134 quad_perm:[2,2,2,2] row_mask:0xf bank_mask:0xf// 000000003E3C: 0BED0CFA FF00AAFD
	v_mul_f32_dpp v247, v253, v135 quad_perm:[3,3,3,3] row_mask:0xf bank_mask:0xf// 000000003E44: 0BEF0EFA FF00FFFD
	v_mov_b32_e32 v62, 0x358637bd                              // 000000003E4C: 7E7C02FF 358637BD
	v_max3_f32 v62, |v240|, |v241|, v62                        // 000000003E54: D1D3033E 04FBE3F0
	v_max3_f32 v62, |v242|, |v243|, v62                        // 000000003E5C: D1D3033E 04FBE7F2
	v_max3_f32 v62, |v244|, |v245|, v62                        // 000000003E64: D1D3033E 04FBEBF4
	v_max3_f32 v62, |v246|, |v247|, v62                        // 000000003E6C: D1D3033E 04FBEFF6
	buffer_load_dwordx4 a[108:111], v40, s[20:23], 0 offen     // 000000003E74: E05C1000 80856C28
	ds_write_b32 v11, v62 offset:20992                         // 000000003E7C: D81A5200 00003E0B
	v_sub_f32_e32 v63, v14, v18                                // 000000003E84: 047E250E
	v_cndmask_b32_e64 v63, v63, 0, s[40:41]                    // 000000003E88: D100003F 00A1013F
	v_mov_b32_e32 v14, v18                                     // 000000003E90: 7E1C0312
	v_mul_f32_e32 v63, s64, v63                                // 000000003E94: 0A7E7E40
	v_exp_f32_e32 v63, v63                                     // 000000003E98: 7E7E413F
	s_waitcnt lgkmcnt(0)                                       // 000000003E9C: BF8CC07F
	s_barrier                                                  // 000000003EA0: BF8A0000
	ds_read_b32 v80, v10 offset:20992                          // 000000003EA4: D86C5200 5000000A
	ds_read_b32 v81, v10 offset:21056                          // 000000003EAC: D86C5240 5100000A
	ds_read_b32 v82, v10 offset:21120                          // 000000003EB4: D86C5280 5200000A
	ds_read_b32 v83, v10 offset:21184                          // 000000003EBC: D86C52C0 5300000A
	ds_read_b32 v84, v10 offset:21248                          // 000000003EC4: D86C5300 5400000A
	ds_read_b32 v85, v10 offset:21312                          // 000000003ECC: D86C5340 5500000A
	ds_read_b32 v86, v10 offset:21376                          // 000000003ED4: D86C5380 5600000A
	ds_read_b32 v87, v10 offset:21440                          // 000000003EDC: D86C53C0 5700000A
	ds_read_b32 v88, v10 offset:21504                          // 000000003EE4: D86C5400 5800000A
	ds_read_b32 v89, v10 offset:21568                          // 000000003EEC: D86C5440 5900000A
	ds_read_b32 v90, v10 offset:21632                          // 000000003EF4: D86C5480 5A00000A
	ds_read_b32 v91, v10 offset:21696                          // 000000003EFC: D86C54C0 5B00000A
	ds_read_b32 v92, v10 offset:21760                          // 000000003F04: D86C5500 5C00000A
	ds_read_b32 v93, v10 offset:21824                          // 000000003F0C: D86C5540 5D00000A
	ds_read_b32 v94, v10 offset:21888                          // 000000003F14: D86C5580 5E00000A
	ds_read_b32 v95, v10 offset:21952                          // 000000003F1C: D86C55C0 5F00000A
	v_mul_f32_e32 v47, v63, v47                                // 000000003F24: 0A5E5F3F
	v_mov_b32_e32 v51, v128                                    // 000000003F28: 7E660380
	v_add_f32_e32 v51, v129, v51                               // 000000003F2C: 02666781
	v_add_f32_e32 v51, v130, v51                               // 000000003F30: 02666782
	v_add_f32_e32 v51, v131, v51                               // 000000003F34: 02666783
	v_add_f32_e32 v51, v132, v51                               // 000000003F38: 02666784
	v_add_f32_e32 v51, v133, v51                               // 000000003F3C: 02666785
	v_add_f32_e32 v51, v134, v51                               // 000000003F40: 02666786
	v_add_f32_e32 v51, v135, v51                               // 000000003F44: 02666787
	v_add_f32_e32 v47, v51, v47                                // 000000003F48: 025E5F33
	s_waitcnt lgkmcnt(0)                                       // 000000003F4C: BF8CC07F
	v_max3_f32 v62, |v80|, |v81|, v62                          // 000000003F50: D1D3033E 04FAA350
	v_max3_f32 v62, |v82|, |v83|, v62                          // 000000003F58: D1D3033E 04FAA752
	v_max3_f32 v62, |v84|, |v85|, v62                          // 000000003F60: D1D3033E 04FAAB54
	v_max3_f32 v62, |v86|, |v87|, v62                          // 000000003F68: D1D3033E 04FAAF56
	v_max3_f32 v62, |v88|, |v89|, v62                          // 000000003F70: D1D3033E 04FAB358
	v_max3_f32 v62, |v90|, |v91|, v62                          // 000000003F78: D1D3033E 04FAB75A
	v_max3_f32 v62, |v92|, |v93|, v62                          // 000000003F80: D1D3033E 04FABB5C
	v_max3_f32 v62, |v94|, |v95|, v62                          // 000000003F88: D1D3033E 04FABF5E
	s_nop 2                                                    // 000000003F90: BF800002
	v_mov_b32_dpp v41, v62 row_ror:8 row_mask:0xf bank_mask:0xf// 000000003F94: 7E5202FA FF01283E
	v_max_f32_e32 v62, v62, v41                                // 000000003F9C: 167C533E
	v_rcp_f32_e32 v62, v62                                     // 000000003FA0: 7E7C453E
	s_nop 1                                                    // 000000003FA4: BF800001
	v_mul_f32_e32 v62, 0x42fe0000, v62                         // 000000003FA8: 0A7C7CFF 42FE0000
	v_mul_f32_e32 v128, v62, v240                              // 000000003FB0: 0B01E13E
	v_mul_f32_e32 v129, v62, v241                              // 000000003FB4: 0B03E33E
	v_mul_f32_e32 v130, v62, v242                              // 000000003FB8: 0B05E53E
	v_mul_f32_e32 v131, v62, v243                              // 000000003FBC: 0B07E73E
	v_mul_f32_e32 v132, v62, v244                              // 000000003FC0: 0B09E93E
	v_mul_f32_e32 v133, v62, v245                              // 000000003FC4: 0B0BEB3E
	v_mul_f32_e32 v134, v62, v246                              // 000000003FC8: 0B0DED3E
	v_mul_f32_e32 v135, v62, v247                              // 000000003FCC: 0B0FEF3E
	v_cvt_i32_f32_e32 v128, v128                               // 000000003FD0: 7F001180
	v_cvt_i32_f32_e32 v129, v129                               // 000000003FD4: 7F021181
	v_cvt_i32_f32_e32 v130, v130                               // 000000003FD8: 7F041182
	v_cvt_i32_f32_e32 v131, v131                               // 000000003FDC: 7F061183
	v_cvt_i32_f32_e32 v132, v132                               // 000000003FE0: 7F081184
	v_cvt_i32_f32_e32 v133, v133                               // 000000003FE4: 7F0A1185
	v_cvt_i32_f32_e32 v134, v134                               // 000000003FE8: 7F0C1186
	v_cvt_i32_f32_e32 v135, v135                               // 000000003FEC: 7F0E1187
	v_perm_b32 v128, v129, v128, s53                           // 000000003FF0: D1ED0080 00D70181
	v_perm_b32 v128, v130, v128, s54                           // 000000003FF8: D1ED0080 00DB0182
	v_perm_b32 v128, v131, v128, s55                           // 000000004000: D1ED0080 00DF0183
	v_perm_b32 v129, v133, v132, s53                           // 000000004008: D1ED0081 00D70985
	v_perm_b32 v129, v134, v129, s54                           // 000000004010: D1ED0081 00DB0386
	v_perm_b32 v129, v135, v129, s55                           // 000000004018: D1ED0081 00DF0387
	ds_write_b32 v13, v128 offset:25088                        // 000000004020: D81A6200 0000800D
	ds_write_b32 v13, v129 offset:26112                        // 000000004028: D81A6600 0000810D
	v_cvt_f32_i32_e32 v192, v192                               // 000000004030: 7F800BC0
	v_cvt_f32_i32_e32 v193, v193                               // 000000004034: 7F820BC1
	v_cvt_f32_i32_e32 v194, v194                               // 000000004038: 7F840BC2
	v_cvt_f32_i32_e32 v195, v195                               // 00000000403C: 7F860BC3
	v_mul_f32_e32 v192, v58, v192                              // 000000004040: 0B81813A
	v_mul_f32_e32 v193, v58, v193                              // 000000004044: 0B83833A
	v_mul_f32_e32 v194, v58, v194                              // 000000004048: 0B85853A
	v_mul_f32_e32 v195, v58, v195                              // 00000000404C: 0B87873A
	v_rcp_f32_e32 v58, v62                                     // 000000004050: 7E74453E
	s_waitcnt lgkmcnt(0)                                       // 000000004054: BF8CC07F
	s_barrier                                                  // 000000004058: BF8A0000
	ds_read_b64 v[128:129], v12 offset:25088                   // 00000000405C: D8EC6200 8000000C
	ds_read_b64 v[130:131], v12 offset:25216                   // 000000004064: D8EC6280 8200000C
	ds_read_b64 v[132:133], v12 offset:26112                   // 00000000406C: D8EC6600 8400000C
	ds_read_b64 v[134:135], v12 offset:26240                   // 000000004074: D8EC6680 8600000C
	v_add_f32_e32 v224, v224, v192                             // 00000000407C: 03C181E0
	v_add_f32_e32 v225, v225, v193                             // 000000004080: 03C383E1
	v_add_f32_e32 v226, v226, v194                             // 000000004084: 03C585E2
	v_add_f32_e32 v227, v227, v195                             // 000000004088: 03C787E3
	s_waitcnt lgkmcnt(3)                                       // 00000000408C: BF8CC37F
	v_mov_b32_dpp v136, v128 row_shl:8 row_mask:0xf bank_mask:0xf bound_ctrl:1// 000000004090: 7F1002FA FF090880
	v_and_b32_e32 v128, v128, v9                               // 000000004098: 27001380
	v_mov_b32_dpp v137, v129 row_shl:8 row_mask:0xf bank_mask:0xf bound_ctrl:1// 00000000409C: 7F1202FA FF090881
	v_and_b32_e32 v129, v129, v9                               // 0000000040A4: 27021381
	s_waitcnt lgkmcnt(2)                                       // 0000000040A8: BF8CC27F
	v_mov_b32_dpp v138, v130 row_shl:8 row_mask:0xf bank_mask:0xf bound_ctrl:1// 0000000040AC: 7F1402FA FF090882
	v_and_b32_e32 v130, v130, v9                               // 0000000040B4: 27041382
	v_mov_b32_dpp v139, v131 row_shl:8 row_mask:0xf bank_mask:0xf bound_ctrl:1// 0000000040B8: 7F1602FA FF090883
	v_and_b32_e32 v131, v131, v9                               // 0000000040C0: 27061383
	s_waitcnt lgkmcnt(1)                                       // 0000000040C4: BF8CC17F
	v_mov_b32_dpp v140, v132 row_shl:8 row_mask:0xf bank_mask:0xf bound_ctrl:1// 0000000040C8: 7F1802FA FF090884
	v_and_b32_e32 v132, v132, v9                               // 0000000040D0: 27081384
	v_mov_b32_dpp v141, v133 row_shl:8 row_mask:0xf bank_mask:0xf bound_ctrl:1// 0000000040D4: 7F1A02FA FF090885
	v_and_b32_e32 v133, v133, v9                               // 0000000040DC: 270A1385
	s_waitcnt lgkmcnt(0)                                       // 0000000040E0: BF8CC07F
	v_mov_b32_dpp v142, v134 row_shl:8 row_mask:0xf bank_mask:0xf bound_ctrl:1// 0000000040E4: 7F1C02FA FF090886
	v_and_b32_e32 v134, v134, v9                               // 0000000040EC: 270C1386
	v_mov_b32_dpp v143, v135 row_shl:8 row_mask:0xf bank_mask:0xf bound_ctrl:1// 0000000040F0: 7F1E02FA FF090887
	v_and_b32_e32 v135, v135, v9                               // 0000000040F8: 270E1387
	s_waitcnt vmcnt(15)                                        // 0000000040FC: BF8C0F7F
	v_mfma_i32_16x16x32_i8 v[192:195], a[64:65], v[128:129], 0 // 000000004100: D3D700C0 0A030140
	buffer_load_dwordx4 a[112:115], v37, s[20:23], 0 offen offset:1024// 000000004108: E05C1400 80857025
	v_mfma_i32_16x16x32_i8 v[192:195], a[66:67], v[130:131], v[192:195]// 000000004110: D3D700C0 0F030542
	v_mfma_i32_16x16x32_i8 v[192:195], a[68:69], v[132:133], v[192:195]// 000000004118: D3D700C0 0F030944
	v_mfma_i32_16x16x32_i8 v[192:195], a[70:71], v[134:135], v[192:195]// 000000004120: D3D700C0 0F030D46
	v_mfma_i32_16x16x32_i8 v[192:195], a[72:73], v[136:137], v[192:195]// 000000004128: D3D700C0 0F031148
	buffer_load_dwordx4 a[116:119], v38, s[20:23], 0 offen offset:1024// 000000004130: E05C1400 80857426
	v_mfma_i32_16x16x32_i8 v[192:195], a[74:75], v[138:139], v[192:195]// 000000004138: D3D700C0 0F03154A
	v_mfma_i32_16x16x32_i8 v[192:195], a[76:77], v[140:141], v[192:195]// 000000004140: D3D700C0 0F03194C
	v_mfma_i32_16x16x32_i8 v[192:195], a[78:79], v[142:143], v[192:195]// 000000004148: D3D700C0 0F031D4E
	v_mfma_i32_16x16x32_i8 v[196:199], a[80:81], v[128:129], 0 // 000000004150: D3D700C4 0A030150
	buffer_load_dwordx4 a[120:123], v39, s[20:23], 0 offen offset:1024// 000000004158: E05C1400 80857827
	v_mfma_i32_16x16x32_i8 v[196:199], a[82:83], v[130:131], v[196:199]// 000000004160: D3D700C4 0F130552
	v_mfma_i32_16x16x32_i8 v[196:199], a[84:85], v[132:133], v[196:199]// 000000004168: D3D700C4 0F130954
	v_mfma_i32_16x16x32_i8 v[196:199], a[86:87], v[134:135], v[196:199]// 000000004170: D3D700C4 0F130D56
	v_mfma_i32_16x16x32_i8 v[196:199], a[88:89], v[136:137], v[196:199]// 000000004178: D3D700C4 0F131158
	buffer_load_dwordx4 a[124:127], v40, s[20:23], 0 offen offset:1024// 000000004180: E05C1400 80857C28
	v_mfma_i32_16x16x32_i8 v[196:199], a[90:91], v[138:139], v[196:199]// 000000004188: D3D700C4 0F13155A
	v_mfma_i32_16x16x32_i8 v[196:199], a[92:93], v[140:141], v[196:199]// 000000004190: D3D700C4 0F13195C
	s_lshr_b32 s57, s70, 4                                     // 000000004198: 8F398446
	s_add_u32 s57, 48, s57                                     // 00000000419C: 803939B0
	v_mfma_i32_16x16x32_i8 v[196:199], a[94:95], v[142:143], v[196:199]// 0000000041A0: D3D700C4 0F131D5E
	s_cmp_ge_u32 s57, s73                                      // 0000000041A8: BF094939
	s_cselect_b32 s56, 0, s56                                  // 0000000041AC: 85383880
	v_add_u32_e32 v1, s56, v1                                  // 0000000041B0: 68020238
	s_addk_i32 s70, 0x100                                      // 0000000041B4: B7460100
	s_cmp_lt_i32 s70, s71                                      // 0000000041B8: BF044746
	s_cbranch_scc0 label_05FB                                  // 0000000041BC: BF84FE0B
	s_waitcnt vmcnt(8) lgkmcnt(0)                              // 0000000041C0: BF8C0078
	v_mul_u32_u24_dpp v41, v19, v68 row_newbcast:0 row_mask:0xf bank_mask:0xf// 0000000041C4: 105288FA FF015013
	v_mul_u32_u24_dpp v42, v19, v68 row_newbcast:4 row_mask:0xf bank_mask:0xf// 0000000041CC: 105488FA FF015413
	v_mul_u32_u24_dpp v43, v19, v68 row_newbcast:8 row_mask:0xf bank_mask:0xf// 0000000041D4: 105688FA FF015813
	v_mul_u32_u24_dpp v44, v19, v68 row_newbcast:12 row_mask:0xf bank_mask:0xf// 0000000041DC: 105888FA FF015C13
	v_add_u32_e32 v25, v41, v6                                 // 0000000041E4: 68320D29
	v_add_u32_e32 v26, v42, v6                                 // 0000000041E8: 68340D2A
	v_add_u32_e32 v27, v43, v6                                 // 0000000041EC: 68360D2B
	v_add_u32_e32 v28, v44, v6                                 // 0000000041F0: 68380D2C
	v_mul_u32_u24_dpp v41, v19, v78 quad_perm:[0,0,0,0] row_mask:0xf bank_mask:0xf// 0000000041F4: 10529CFA FF000013
	v_add_u32_e32 v2, v41, v74                                 // 0000000041FC: 68049529
	v_mul_u32_u24_dpp v41, v19, v78 quad_perm:[0,0,0,0] row_mask:0xf bank_mask:0xf// 000000004200: 10529CFA FF000013
	v_add_u32_e32 v70, v41, v75                                // 000000004208: 688C9729
	v_mfma_i32_16x16x32_i8 v[128:131], a[32:33], v[96:97], 0   // 00000000420C: D3D70080 0A02C120
	buffer_load_dwordx4 a[0:3], v25, s[16:19], 0 offen         // 000000004214: E05C1000 80840019
	v_mfma_i32_16x16x32_i8 v[128:131], a[34:35], v[98:99], v[128:131]// 00000000421C: D3D70080 0E02C522
	v_mfma_i32_16x16x32_i8 v[128:131], a[36:37], v[100:101], v[128:131]// 000000004224: D3D70080 0E02C924
	buffer_load_dword v20, v1, s[24:27], 0 offen               // 00000000422C: E0501000 80061401
	v_mfma_i32_16x16x32_i8 v[128:131], a[38:39], v[102:103], v[128:131]// 000000004234: D3D70080 0E02CD26
	v_mfma_i32_16x16x32_i8 v[132:135], a[40:41], v[96:97], 0   // 00000000423C: D3D70084 0A02C128
	buffer_load_dwordx4 a[4:7], v25, s[16:19], 0 offen offset:1024// 000000004244: E05C1400 80840419
	v_mfma_i32_16x16x32_i8 v[132:135], a[42:43], v[98:99], v[132:135]// 00000000424C: D3D70084 0E12C52A
	v_mfma_i32_16x16x32_i8 v[132:135], a[44:45], v[100:101], v[132:135]// 000000004254: D3D70084 0E12C92C
	v_mfma_i32_16x16x32_i8 v[132:135], a[46:47], v[102:103], v[132:135]// 00000000425C: D3D70084 0E12CD2E
	v_mfma_i32_16x16x32_i8 v[136:139], a[48:49], v[96:97], 0   // 000000004264: D3D70088 0A02C130
	buffer_load_dwordx4 a[8:11], v26, s[16:19], 0 offen        // 00000000426C: E05C1000 8084081A
	v_mfma_i32_16x16x32_i8 v[136:139], a[50:51], v[98:99], v[136:139]// 000000004274: D3D70088 0E22C532
	v_mfma_i32_16x16x32_i8 v[136:139], a[52:53], v[100:101], v[136:139]// 00000000427C: D3D70088 0E22C934
	v_mfma_i32_16x16x32_i8 v[136:139], a[54:55], v[102:103], v[136:139]// 000000004284: D3D70088 0E22CD36
	v_mfma_i32_16x16x32_i8 v[140:143], a[56:57], v[96:97], 0   // 00000000428C: D3D7008C 0A02C138
	buffer_load_dwordx4 a[12:15], v26, s[16:19], 0 offen offset:1024// 000000004294: E05C1400 80840C1A
	v_mfma_i32_16x16x32_i8 v[140:143], a[58:59], v[98:99], v[140:143]// 00000000429C: D3D7008C 0E32C53A
	v_mfma_i32_16x16x32_i8 v[140:143], a[60:61], v[100:101], v[140:143]// 0000000042A4: D3D7008C 0E32C93C
	v_mfma_i32_16x16x32_i8 v[140:143], a[62:63], v[102:103], v[140:143]// 0000000042AC: D3D7008C 0E32CD3E
	buffer_load_dword v52, v2, s[32:35], 0 offen               // 0000000042B4: E0501000 80083402
	v_mov_b32_dpp v41, v53 row_shr:4 row_mask:0xf bank_mask:0xf// 0000000042BC: 7E5202FA FF011435
	v_mov_b32_dpp v42, v53 row_shl:4 row_mask:0xf bank_mask:0xf// 0000000042C4: 7E5402FA FF010435
	v_cndmask_b32_e64 v248, v53, v41, s[44:45]                 // 0000000042CC: D10000F8 00B25335
	v_cndmask_b32_e64 v249, v42, v53, s[44:45]                 // 0000000042D4: D10000F9 00B26B2A
	v_mov_b32_dpp v41, v73 row_shr:4 row_mask:0xf bank_mask:0xf// 0000000042DC: 7E5202FA FF011449
	v_mov_b32_dpp v42, v73 row_shl:4 row_mask:0xf bank_mask:0xf// 0000000042E4: 7E5402FA FF010449
	v_cndmask_b32_e64 v252, v73, v41, s[44:45]                 // 0000000042EC: D10000FC 00B25349
	v_cndmask_b32_e64 v253, v42, v73, s[44:45]                 // 0000000042F4: D10000FD 00B2932A
	v_or_b32_dpp v128, v136, v128 row_shr:8 row_mask:0xf bank_mask:0xf bound_ctrl:1// 0000000042FC: 290100FA FF091888
	v_or_b32_dpp v129, v137, v129 row_shr:8 row_mask:0xf bank_mask:0xf bound_ctrl:1// 000000004304: 290302FA FF091889
	v_or_b32_dpp v130, v138, v130 row_shr:8 row_mask:0xf bank_mask:0xf bound_ctrl:1// 00000000430C: 290504FA FF09188A
	v_or_b32_dpp v131, v139, v131 row_shr:8 row_mask:0xf bank_mask:0xf bound_ctrl:1// 000000004314: 290706FA FF09188B
	v_or_b32_dpp v132, v140, v132 row_shr:8 row_mask:0xf bank_mask:0xf bound_ctrl:1// 00000000431C: 290908FA FF09188C
	v_or_b32_dpp v133, v141, v133 row_shr:8 row_mask:0xf bank_mask:0xf bound_ctrl:1// 000000004324: 290B0AFA FF09188D
	v_or_b32_dpp v134, v142, v134 row_shr:8 row_mask:0xf bank_mask:0xf bound_ctrl:1// 00000000432C: 290D0CFA FF09188E
	v_or_b32_dpp v135, v143, v135 row_shr:8 row_mask:0xf bank_mask:0xf bound_ctrl:1// 000000004334: 290F0EFA FF09188F
	buffer_load_dword v72, v70, s[36:39], 0 offen              // 00000000433C: E0501000 80094846
	v_cvt_f32_i32_e32 v128, v128                               // 000000004344: 7F000B80
	v_cvt_f32_i32_e32 v129, v129                               // 000000004348: 7F020B81
	v_cvt_f32_i32_e32 v130, v130                               // 00000000434C: 7F040B82
	v_cvt_f32_i32_e32 v131, v131                               // 000000004350: 7F060B83
	v_cvt_f32_i32_e32 v132, v132                               // 000000004354: 7F080B84
	v_cvt_f32_i32_e32 v133, v133                               // 000000004358: 7F0A0B85
	v_cvt_f32_i32_e32 v134, v134                               // 00000000435C: 7F0C0B86
	v_cvt_f32_i32_e32 v135, v135                               // 000000004360: 7F0E0B87
	v_mul_f32_e32 v128, v54, v128                              // 000000004364: 0B010136
	v_mul_f32_e32 v129, v54, v129                              // 000000004368: 0B030336
	v_mul_f32_e32 v130, v54, v130                              // 00000000436C: 0B050536
	v_mul_f32_e32 v131, v54, v131                              // 000000004370: 0B070736
	v_mul_f32_e32 v132, v54, v132                              // 000000004374: 0B090936
	v_mul_f32_e32 v133, v54, v133                              // 000000004378: 0B0B0B36
	v_mul_f32_e32 v134, v54, v134                              // 00000000437C: 0B0D0D36
	v_mul_f32_e32 v135, v54, v135                              // 000000004380: 0B0F0F36
	buffer_load_dwordx4 a[16:19], v27, s[16:19], 0 offen       // 000000004384: E05C1000 8084101B
	v_mul_f32_dpp v128, v248, v128 quad_perm:[0,0,0,0] row_mask:0xf bank_mask:0xf// 00000000438C: 0B0100FA FF0000F8
	v_mul_f32_dpp v129, v248, v129 quad_perm:[1,1,1,1] row_mask:0xf bank_mask:0xf// 000000004394: 0B0302FA FF0055F8
	v_mul_f32_dpp v130, v248, v130 quad_perm:[2,2,2,2] row_mask:0xf bank_mask:0xf// 00000000439C: 0B0504FA FF00AAF8
	v_mul_f32_dpp v131, v248, v131 quad_perm:[3,3,3,3] row_mask:0xf bank_mask:0xf// 0000000043A4: 0B0706FA FF00FFF8
	v_mul_f32_dpp v132, v249, v132 quad_perm:[0,0,0,0] row_mask:0xf bank_mask:0xf// 0000000043AC: 0B0908FA FF0000F9
	v_mul_f32_dpp v133, v249, v133 quad_perm:[1,1,1,1] row_mask:0xf bank_mask:0xf// 0000000043B4: 0B0B0AFA FF0055F9
	v_mul_f32_dpp v134, v249, v134 quad_perm:[2,2,2,2] row_mask:0xf bank_mask:0xf// 0000000043BC: 0B0D0CFA FF00AAF9
	v_mul_f32_dpp v135, v249, v135 quad_perm:[3,3,3,3] row_mask:0xf bank_mask:0xf// 0000000043C4: 0B0F0EFA FF00FFF9
	buffer_load_dwordx4 a[20:23], v27, s[16:19], 0 offen offset:1024// 0000000043CC: E05C1400 8084141B
	v_mov_b32_e32 v62, v128                                    // 0000000043D4: 7E7C0380
	v_max3_f32 v62, v128, v129, v62                            // 0000000043D8: D1D3003E 04FB0380
	v_max3_f32 v62, v130, v131, v62                            // 0000000043E0: D1D3003E 04FB0782
	v_max3_f32 v62, v132, v133, v62                            // 0000000043E8: D1D3003E 04FB0B84
	v_max3_f32 v62, v134, v135, v62                            // 0000000043F0: D1D3003E 04FB0F86
	ds_write_b32 v11, v62 offset:16896                         // 0000000043F8: D81A4200 00003E0B
	buffer_load_dwordx4 a[24:27], v28, s[16:19], 0 offen       // 000000004400: E05C1000 8084181C
	v_mul_u32_u24_dpp v41, v19, v68 row_newbcast:1 row_mask:0xf bank_mask:0xf// 000000004408: 105288FA FF015113
	v_mul_u32_u24_dpp v42, v19, v68 row_newbcast:5 row_mask:0xf bank_mask:0xf// 000000004410: 105488FA FF015513
	v_mul_u32_u24_dpp v43, v19, v68 row_newbcast:9 row_mask:0xf bank_mask:0xf// 000000004418: 105688FA FF015913
	v_mul_u32_u24_dpp v44, v19, v68 row_newbcast:13 row_mask:0xf bank_mask:0xf// 000000004420: 105888FA FF015D13
	v_add_u32_e32 v33, v41, v7                                 // 000000004428: 68420F29
	v_add_u32_e32 v34, v42, v7                                 // 00000000442C: 68440F2A
	v_add_u32_e32 v35, v43, v7                                 // 000000004430: 68460F2B
	v_add_u32_e32 v36, v44, v7                                 // 000000004434: 68480F2C
	s_waitcnt lgkmcnt(0)                                       // 000000004438: BF8CC07F
	s_barrier                                                  // 00000000443C: BF8A0000
	ds_read_b32 v80, v10 offset:16896                          // 000000004440: D86C4200 5000000A
	ds_read_b32 v81, v10 offset:16960                          // 000000004448: D86C4240 5100000A
	ds_read_b32 v82, v10 offset:17024                          // 000000004450: D86C4280 5200000A
	ds_read_b32 v83, v10 offset:17088                          // 000000004458: D86C42C0 5300000A
	ds_read_b32 v84, v10 offset:17152                          // 000000004460: D86C4300 5400000A
	ds_read_b32 v85, v10 offset:17216                          // 000000004468: D86C4340 5500000A
	ds_read_b32 v86, v10 offset:17280                          // 000000004470: D86C4380 5600000A
	ds_read_b32 v87, v10 offset:17344                          // 000000004478: D86C43C0 5700000A
	ds_read_b32 v88, v10 offset:17408                          // 000000004480: D86C4400 5800000A
	ds_read_b32 v89, v10 offset:17472                          // 000000004488: D86C4440 5900000A
	ds_read_b32 v90, v10 offset:17536                          // 000000004490: D86C4480 5A00000A
	ds_read_b32 v91, v10 offset:17600                          // 000000004498: D86C44C0 5B00000A
	ds_read_b32 v92, v10 offset:17664                          // 0000000044A0: D86C4500 5C00000A
	ds_read_b32 v93, v10 offset:17728                          // 0000000044A8: D86C4540 5D00000A
	ds_read_b32 v94, v10 offset:17792                          // 0000000044B0: D86C4580 5E00000A
	ds_read_b32 v95, v10 offset:17856                          // 0000000044B8: D86C45C0 5F00000A
	buffer_load_dwordx4 a[28:31], v28, s[16:19], 0 offen offset:1024// 0000000044C0: E05C1400 80841C1C
	v_mul_f32_e32 v224, v63, v224                              // 0000000044C8: 0BC1C13F
	v_mul_f32_e32 v225, v63, v225                              // 0000000044CC: 0BC3C33F
	v_mul_f32_e32 v226, v63, v226                              // 0000000044D0: 0BC5C53F
	v_mul_f32_e32 v227, v63, v227                              // 0000000044D4: 0BC7C73F
	v_or_b32_dpp v192, v196, v192 row_shr:8 row_mask:0xf bank_mask:0xf bound_ctrl:1// 0000000044D8: 298180FA FF0918C4
	v_or_b32_dpp v193, v197, v193 row_shr:8 row_mask:0xf bank_mask:0xf bound_ctrl:1// 0000000044E0: 298382FA FF0918C5
	v_or_b32_dpp v194, v198, v194 row_shr:8 row_mask:0xf bank_mask:0xf bound_ctrl:1// 0000000044E8: 298584FA FF0918C6
	v_or_b32_dpp v195, v199, v195 row_shr:8 row_mask:0xf bank_mask:0xf bound_ctrl:1// 0000000044F0: 298786FA FF0918C7
	s_waitcnt lgkmcnt(0)                                       // 0000000044F8: BF8CC07F
	v_max3_f32 v62, v80, v81, v62                              // 0000000044FC: D1D3003E 04FAA350
	v_max3_f32 v62, v82, v83, v62                              // 000000004504: D1D3003E 04FAA752
	v_max3_f32 v62, v84, v85, v62                              // 00000000450C: D1D3003E 04FAAB54
	v_max3_f32 v62, v86, v87, v62                              // 000000004514: D1D3003E 04FAAF56
	v_max3_f32 v62, v88, v89, v62                              // 00000000451C: D1D3003E 04FAB358
	v_max3_f32 v62, v90, v91, v62                              // 000000004524: D1D3003E 04FAB75A
	v_max3_f32 v62, v92, v93, v62                              // 00000000452C: D1D3003E 04FABB5C
	v_max3_f32 v62, v94, v95, v62                              // 000000004534: D1D3003E 04FABF5E
	buffer_load_dwordx4 a[64:67], v33, s[20:23], 0 offen       // 00000000453C: E05C1000 80854021
	v_cmp_eq_u32_e64 s[40:41], v69, v14                        // 000000004544: D0CA0028 00021D45
	s_nop 1                                                    // 00000000454C: BF800001
	v_mov_b32_dpp v41, v62 row_ror:8 row_mask:0xf bank_mask:0xf// 000000004550: 7E5202FA FF01283E
	v_max_f32_e32 v62, v62, v41                                // 000000004558: 167C533E
	v_max_f32_e32 v18, v62, v14                                // 00000000455C: 16241D3E
	v_mul_f32_e32 v67, s64, v18                                // 000000004560: 0A862440
	v_fma_f32 v128, v128, s64, -v67                            // 000000004564: D1CB0080 850C8180
	v_fma_f32 v129, v129, s64, -v67                            // 00000000456C: D1CB0081 850C8181
	v_fma_f32 v130, v130, s64, -v67                            // 000000004574: D1CB0082 850C8182
	v_fma_f32 v131, v131, s64, -v67                            // 00000000457C: D1CB0083 850C8183
	v_fma_f32 v132, v132, s64, -v67                            // 000000004584: D1CB0084 850C8184
	v_fma_f32 v133, v133, s64, -v67                            // 00000000458C: D1CB0085 850C8185
	v_fma_f32 v134, v134, s64, -v67                            // 000000004594: D1CB0086 850C8186
	v_fma_f32 v135, v135, s64, -v67                            // 00000000459C: D1CB0087 850C8187
	buffer_load_dwordx4 a[68:71], v34, s[20:23], 0 offen       // 0000000045A4: E05C1000 80854422
	v_exp_f32_e32 v128, v128                                   // 0000000045AC: 7F004180
	v_exp_f32_e32 v129, v129                                   // 0000000045B0: 7F024181
	v_exp_f32_e32 v130, v130                                   // 0000000045B4: 7F044182
	v_exp_f32_e32 v131, v131                                   // 0000000045B8: 7F064183
	v_exp_f32_e32 v132, v132                                   // 0000000045BC: 7F084184
	v_exp_f32_e32 v133, v133                                   // 0000000045C0: 7F0A4185
	v_exp_f32_e32 v134, v134                                   // 0000000045C4: 7F0C4186
	v_exp_f32_e32 v135, v135                                   // 0000000045C8: 7F0E4187
	buffer_load_dwordx4 a[72:75], v35, s[20:23], 0 offen       // 0000000045CC: E05C1000 80854823
	v_mul_f32_dpp v240, v252, v128 quad_perm:[0,0,0,0] row_mask:0xf bank_mask:0xf// 0000000045D4: 0BE100FA FF0000FC
	v_mul_f32_dpp v241, v252, v129 quad_perm:[1,1,1,1] row_mask:0xf bank_mask:0xf// 0000000045DC: 0BE302FA FF0055FC
	v_mul_f32_dpp v242, v252, v130 quad_perm:[2,2,2,2] row_mask:0xf bank_mask:0xf// 0000000045E4: 0BE504FA FF00AAFC
	v_mul_f32_dpp v243, v252, v131 quad_perm:[3,3,3,3] row_mask:0xf bank_mask:0xf// 0000000045EC: 0BE706FA FF00FFFC
	v_mul_f32_dpp v244, v253, v132 quad_perm:[0,0,0,0] row_mask:0xf bank_mask:0xf// 0000000045F4: 0BE908FA FF0000FD
	v_mul_f32_dpp v245, v253, v133 quad_perm:[1,1,1,1] row_mask:0xf bank_mask:0xf// 0000000045FC: 0BEB0AFA FF0055FD
	v_mul_f32_dpp v246, v253, v134 quad_perm:[2,2,2,2] row_mask:0xf bank_mask:0xf// 000000004604: 0BED0CFA FF00AAFD
	v_mul_f32_dpp v247, v253, v135 quad_perm:[3,3,3,3] row_mask:0xf bank_mask:0xf// 00000000460C: 0BEF0EFA FF00FFFD
	v_mov_b32_e32 v62, 0x358637bd                              // 000000004614: 7E7C02FF 358637BD
	v_max3_f32 v62, |v240|, |v241|, v62                        // 00000000461C: D1D3033E 04FBE3F0
	v_max3_f32 v62, |v242|, |v243|, v62                        // 000000004624: D1D3033E 04FBE7F2
	v_max3_f32 v62, |v244|, |v245|, v62                        // 00000000462C: D1D3033E 04FBEBF4
	v_max3_f32 v62, |v246|, |v247|, v62                        // 000000004634: D1D3033E 04FBEFF6
	buffer_load_dwordx4 a[76:79], v36, s[20:23], 0 offen       // 00000000463C: E05C1000 80854C24
	ds_write_b32 v11, v62 offset:20992                         // 000000004644: D81A5200 00003E0B
	v_sub_f32_e32 v63, v14, v18                                // 00000000464C: 047E250E
	v_cndmask_b32_e64 v63, v63, 0, s[40:41]                    // 000000004650: D100003F 00A1013F
	v_mov_b32_e32 v14, v18                                     // 000000004658: 7E1C0312
	v_mul_f32_e32 v63, s64, v63                                // 00000000465C: 0A7E7E40
	v_exp_f32_e32 v63, v63                                     // 000000004660: 7E7E413F
	s_waitcnt lgkmcnt(0)                                       // 000000004664: BF8CC07F
	s_barrier                                                  // 000000004668: BF8A0000
	ds_read_b32 v80, v10 offset:20992                          // 00000000466C: D86C5200 5000000A
	ds_read_b32 v81, v10 offset:21056                          // 000000004674: D86C5240 5100000A
	ds_read_b32 v82, v10 offset:21120                          // 00000000467C: D86C5280 5200000A
	ds_read_b32 v83, v10 offset:21184                          // 000000004684: D86C52C0 5300000A
	ds_read_b32 v84, v10 offset:21248                          // 00000000468C: D86C5300 5400000A
	ds_read_b32 v85, v10 offset:21312                          // 000000004694: D86C5340 5500000A
	ds_read_b32 v86, v10 offset:21376                          // 00000000469C: D86C5380 5600000A
	ds_read_b32 v87, v10 offset:21440                          // 0000000046A4: D86C53C0 5700000A
	ds_read_b32 v88, v10 offset:21504                          // 0000000046AC: D86C5400 5800000A
	ds_read_b32 v89, v10 offset:21568                          // 0000000046B4: D86C5440 5900000A
	ds_read_b32 v90, v10 offset:21632                          // 0000000046BC: D86C5480 5A00000A
	ds_read_b32 v91, v10 offset:21696                          // 0000000046C4: D86C54C0 5B00000A
	ds_read_b32 v92, v10 offset:21760                          // 0000000046CC: D86C5500 5C00000A
	ds_read_b32 v93, v10 offset:21824                          // 0000000046D4: D86C5540 5D00000A
	ds_read_b32 v94, v10 offset:21888                          // 0000000046DC: D86C5580 5E00000A
	ds_read_b32 v95, v10 offset:21952                          // 0000000046E4: D86C55C0 5F00000A
	v_mul_f32_e32 v47, v63, v47                                // 0000000046EC: 0A5E5F3F
	v_mov_b32_e32 v51, v128                                    // 0000000046F0: 7E660380
	v_add_f32_e32 v51, v129, v51                               // 0000000046F4: 02666781
	v_add_f32_e32 v51, v130, v51                               // 0000000046F8: 02666782
	v_add_f32_e32 v51, v131, v51                               // 0000000046FC: 02666783
	v_add_f32_e32 v51, v132, v51                               // 000000004700: 02666784
	v_add_f32_e32 v51, v133, v51                               // 000000004704: 02666785
	;; [unrolled: 1-line block ×3, first 2 shown]
	v_add_f32_e32 v51, v135, v51                               // 00000000470C: 02666787
	v_add_f32_e32 v47, v51, v47                                // 000000004710: 025E5F33
	s_waitcnt lgkmcnt(0)                                       // 000000004714: BF8CC07F
	v_max3_f32 v62, |v80|, |v81|, v62                          // 000000004718: D1D3033E 04FAA350
	v_max3_f32 v62, |v82|, |v83|, v62                          // 000000004720: D1D3033E 04FAA752
	v_max3_f32 v62, |v84|, |v85|, v62                          // 000000004728: D1D3033E 04FAAB54
	v_max3_f32 v62, |v86|, |v87|, v62                          // 000000004730: D1D3033E 04FAAF56
	v_max3_f32 v62, |v88|, |v89|, v62                          // 000000004738: D1D3033E 04FAB358
	v_max3_f32 v62, |v90|, |v91|, v62                          // 000000004740: D1D3033E 04FAB75A
	v_max3_f32 v62, |v92|, |v93|, v62                          // 000000004748: D1D3033E 04FABB5C
	v_max3_f32 v62, |v94|, |v95|, v62                          // 000000004750: D1D3033E 04FABF5E
	s_nop 2                                                    // 000000004758: BF800002
	v_mov_b32_dpp v41, v62 row_ror:8 row_mask:0xf bank_mask:0xf// 00000000475C: 7E5202FA FF01283E
	v_max_f32_e32 v62, v62, v41                                // 000000004764: 167C533E
	v_rcp_f32_e32 v62, v62                                     // 000000004768: 7E7C453E
	s_nop 1                                                    // 00000000476C: BF800001
	v_mul_f32_e32 v62, 0x42fe0000, v62                         // 000000004770: 0A7C7CFF 42FE0000
	v_mul_f32_e32 v128, v62, v240                              // 000000004778: 0B01E13E
	v_mul_f32_e32 v129, v62, v241                              // 00000000477C: 0B03E33E
	v_mul_f32_e32 v130, v62, v242                              // 000000004780: 0B05E53E
	v_mul_f32_e32 v131, v62, v243                              // 000000004784: 0B07E73E
	v_mul_f32_e32 v132, v62, v244                              // 000000004788: 0B09E93E
	v_mul_f32_e32 v133, v62, v245                              // 00000000478C: 0B0BEB3E
	v_mul_f32_e32 v134, v62, v246                              // 000000004790: 0B0DED3E
	v_mul_f32_e32 v135, v62, v247                              // 000000004794: 0B0FEF3E
	v_cvt_i32_f32_e32 v128, v128                               // 000000004798: 7F001180
	v_cvt_i32_f32_e32 v129, v129                               // 00000000479C: 7F021181
	v_cvt_i32_f32_e32 v130, v130                               // 0000000047A0: 7F041182
	v_cvt_i32_f32_e32 v131, v131                               // 0000000047A4: 7F061183
	v_cvt_i32_f32_e32 v132, v132                               // 0000000047A8: 7F081184
	v_cvt_i32_f32_e32 v133, v133                               // 0000000047AC: 7F0A1185
	v_cvt_i32_f32_e32 v134, v134                               // 0000000047B0: 7F0C1186
	v_cvt_i32_f32_e32 v135, v135                               // 0000000047B4: 7F0E1187
	v_perm_b32 v128, v129, v128, s53                           // 0000000047B8: D1ED0080 00D70181
	v_perm_b32 v128, v130, v128, s54                           // 0000000047C0: D1ED0080 00DB0182
	v_perm_b32 v128, v131, v128, s55                           // 0000000047C8: D1ED0080 00DF0183
	v_perm_b32 v129, v133, v132, s53                           // 0000000047D0: D1ED0081 00D70985
	v_perm_b32 v129, v134, v129, s54                           // 0000000047D8: D1ED0081 00DB0386
	v_perm_b32 v129, v135, v129, s55                           // 0000000047E0: D1ED0081 00DF0387
	ds_write_b32 v13, v128 offset:25088                        // 0000000047E8: D81A6200 0000800D
	ds_write_b32 v13, v129 offset:26112                        // 0000000047F0: D81A6600 0000810D
	v_cvt_f32_i32_e32 v192, v192                               // 0000000047F8: 7F800BC0
	v_cvt_f32_i32_e32 v193, v193                               // 0000000047FC: 7F820BC1
	v_cvt_f32_i32_e32 v194, v194                               // 000000004800: 7F840BC2
	v_cvt_f32_i32_e32 v195, v195                               // 000000004804: 7F860BC3
	v_mul_f32_e32 v192, v58, v192                              // 000000004808: 0B81813A
	v_mul_f32_e32 v193, v58, v193                              // 00000000480C: 0B83833A
	v_mul_f32_e32 v194, v58, v194                              // 000000004810: 0B85853A
	v_mul_f32_e32 v195, v58, v195                              // 000000004814: 0B87873A
	v_rcp_f32_e32 v58, v62                                     // 000000004818: 7E74453E
	s_waitcnt lgkmcnt(0)                                       // 00000000481C: BF8CC07F
	s_barrier                                                  // 000000004820: BF8A0000
	ds_read_b64 v[128:129], v12 offset:25088                   // 000000004824: D8EC6200 8000000C
	ds_read_b64 v[130:131], v12 offset:25216                   // 00000000482C: D8EC6280 8200000C
	ds_read_b64 v[132:133], v12 offset:26112                   // 000000004834: D8EC6600 8400000C
	ds_read_b64 v[134:135], v12 offset:26240                   // 00000000483C: D8EC6680 8600000C
	v_add_f32_e32 v224, v224, v192                             // 000000004844: 03C181E0
	v_add_f32_e32 v225, v225, v193                             // 000000004848: 03C383E1
	v_add_f32_e32 v226, v226, v194                             // 00000000484C: 03C585E2
	v_add_f32_e32 v227, v227, v195                             // 000000004850: 03C787E3
	s_waitcnt lgkmcnt(3)                                       // 000000004854: BF8CC37F
	v_mov_b32_dpp v136, v128 row_shl:8 row_mask:0xf bank_mask:0xf bound_ctrl:1// 000000004858: 7F1002FA FF090880
	v_and_b32_e32 v128, v128, v9                               // 000000004860: 27001380
	v_mov_b32_dpp v137, v129 row_shl:8 row_mask:0xf bank_mask:0xf bound_ctrl:1// 000000004864: 7F1202FA FF090881
	v_and_b32_e32 v129, v129, v9                               // 00000000486C: 27021381
	s_waitcnt lgkmcnt(2)                                       // 000000004870: BF8CC27F
	v_mov_b32_dpp v138, v130 row_shl:8 row_mask:0xf bank_mask:0xf bound_ctrl:1// 000000004874: 7F1402FA FF090882
	v_and_b32_e32 v130, v130, v9                               // 00000000487C: 27041382
	v_mov_b32_dpp v139, v131 row_shl:8 row_mask:0xf bank_mask:0xf bound_ctrl:1// 000000004880: 7F1602FA FF090883
	v_and_b32_e32 v131, v131, v9                               // 000000004888: 27061383
	s_waitcnt lgkmcnt(1)                                       // 00000000488C: BF8CC17F
	v_mov_b32_dpp v140, v132 row_shl:8 row_mask:0xf bank_mask:0xf bound_ctrl:1// 000000004890: 7F1802FA FF090884
	v_and_b32_e32 v132, v132, v9                               // 000000004898: 27081384
	v_mov_b32_dpp v141, v133 row_shl:8 row_mask:0xf bank_mask:0xf bound_ctrl:1// 00000000489C: 7F1A02FA FF090885
	v_and_b32_e32 v133, v133, v9                               // 0000000048A4: 270A1385
	s_waitcnt lgkmcnt(0)                                       // 0000000048A8: BF8CC07F
	v_mov_b32_dpp v142, v134 row_shl:8 row_mask:0xf bank_mask:0xf bound_ctrl:1// 0000000048AC: 7F1C02FA FF090886
	v_and_b32_e32 v134, v134, v9                               // 0000000048B4: 270C1386
	v_mov_b32_dpp v143, v135 row_shl:8 row_mask:0xf bank_mask:0xf bound_ctrl:1// 0000000048B8: 7F1E02FA FF090887
	v_and_b32_e32 v135, v135, v9                               // 0000000048C0: 270E1387
	s_waitcnt vmcnt(15)                                        // 0000000048C4: BF8C0F7F
	v_mfma_i32_16x16x32_i8 v[192:195], a[96:97], v[128:129], 0 // 0000000048C8: D3D700C0 0A030160
	buffer_load_dwordx4 a[80:83], v33, s[20:23], 0 offen offset:1024// 0000000048D0: E05C1400 80855021
	v_mfma_i32_16x16x32_i8 v[192:195], a[98:99], v[130:131], v[192:195]// 0000000048D8: D3D700C0 0F030562
	v_mfma_i32_16x16x32_i8 v[192:195], a[100:101], v[132:133], v[192:195]// 0000000048E0: D3D700C0 0F030964
	v_mfma_i32_16x16x32_i8 v[192:195], a[102:103], v[134:135], v[192:195]// 0000000048E8: D3D700C0 0F030D66
	v_mfma_i32_16x16x32_i8 v[192:195], a[104:105], v[136:137], v[192:195]// 0000000048F0: D3D700C0 0F031168
	buffer_load_dwordx4 a[84:87], v34, s[20:23], 0 offen offset:1024// 0000000048F8: E05C1400 80855422
	v_mfma_i32_16x16x32_i8 v[192:195], a[106:107], v[138:139], v[192:195]// 000000004900: D3D700C0 0F03156A
	v_mfma_i32_16x16x32_i8 v[192:195], a[108:109], v[140:141], v[192:195]// 000000004908: D3D700C0 0F03196C
	v_mfma_i32_16x16x32_i8 v[192:195], a[110:111], v[142:143], v[192:195]// 000000004910: D3D700C0 0F031D6E
	v_mfma_i32_16x16x32_i8 v[196:199], a[112:113], v[128:129], 0// 000000004918: D3D700C4 0A030170
	buffer_load_dwordx4 a[88:91], v35, s[20:23], 0 offen offset:1024// 000000004920: E05C1400 80855823
	v_mfma_i32_16x16x32_i8 v[196:199], a[114:115], v[130:131], v[196:199]// 000000004928: D3D700C4 0F130572
	v_mfma_i32_16x16x32_i8 v[196:199], a[116:117], v[132:133], v[196:199]// 000000004930: D3D700C4 0F130974
	v_mfma_i32_16x16x32_i8 v[196:199], a[118:119], v[134:135], v[196:199]// 000000004938: D3D700C4 0F130D76
	v_mfma_i32_16x16x32_i8 v[196:199], a[120:121], v[136:137], v[196:199]// 000000004940: D3D700C4 0F131178
	buffer_load_dwordx4 a[92:95], v36, s[20:23], 0 offen offset:1024// 000000004948: E05C1400 80855C24
	v_mfma_i32_16x16x32_i8 v[196:199], a[122:123], v[138:139], v[196:199]// 000000004950: D3D700C4 0F13157A
	v_mfma_i32_16x16x32_i8 v[196:199], a[124:125], v[140:141], v[196:199]// 000000004958: D3D700C4 0F13197C
	s_lshr_b32 s57, s70, 4                                     // 000000004960: 8F398446
	s_add_u32 s57, 48, s57                                     // 000000004964: 803939B0
	v_mfma_i32_16x16x32_i8 v[196:199], a[126:127], v[142:143], v[196:199]// 000000004968: D3D700C4 0F131D7E
	s_cmp_ge_u32 s57, s73                                      // 000000004970: BF094939
	s_cselect_b32 s56, 0, s56                                  // 000000004974: 85383880
	v_add_u32_e32 v1, s56, v1                                  // 000000004978: 68020238
	s_addk_i32 s70, 0x100                                      // 00000000497C: B7460100
	s_cmp_lt_i32 s70, s71                                      // 000000004980: BF044746
	s_cbranch_scc0 label_05FB                                  // 000000004984: BF84FC19
	s_branch label_05FE                                        // 000000004988: BF82FC1B

000000000000498c <label_09E3>:
	s_lshr_b32 s60, s71, 4                                     // 00000000498C: 8F3C8447
	s_cmp_eq_i32 s60, s73                                      // 000000004990: BF00493C
	s_cbranch_scc1 label_0DD4                                  // 000000004994: BF8503EE
	s_lshr_b32 s60, s71, 8                                     // 000000004998: 8F3C8847
	s_and_b32 s60, s60, 1                                      // 00000000499C: 863C813C
	s_cmp_eq_i32 s60, 1                                        // 0000000049A0: BF00813C
	s_cbranch_scc1 label_0BDF                                  // 0000000049A4: BF8501F5
	s_waitcnt vmcnt(8) lgkmcnt(0)                              // 0000000049A8: BF8C0078
	s_barrier                                                  // 0000000049AC: BF8A0000
	v_mfma_i32_16x16x32_i8 v[128:131], a[0:1], v[96:97], 0     // 0000000049B0: D3D70080 0A02C100
	v_mfma_i32_16x16x32_i8 v[128:131], a[2:3], v[98:99], v[128:131]// 0000000049B8: D3D70080 0E02C502
	v_mfma_i32_16x16x32_i8 v[128:131], a[4:5], v[100:101], v[128:131]// 0000000049C0: D3D70080 0E02C904
	v_mfma_i32_16x16x32_i8 v[128:131], a[6:7], v[102:103], v[128:131]// 0000000049C8: D3D70080 0E02CD06
	v_mfma_i32_16x16x32_i8 v[132:135], a[8:9], v[96:97], 0     // 0000000049D0: D3D70084 0A02C108
	v_mfma_i32_16x16x32_i8 v[132:135], a[10:11], v[98:99], v[132:135]// 0000000049D8: D3D70084 0E12C50A
	v_mfma_i32_16x16x32_i8 v[132:135], a[12:13], v[100:101], v[132:135]// 0000000049E0: D3D70084 0E12C90C
	v_mfma_i32_16x16x32_i8 v[132:135], a[14:15], v[102:103], v[132:135]// 0000000049E8: D3D70084 0E12CD0E
	v_mfma_i32_16x16x32_i8 v[136:139], a[16:17], v[96:97], 0   // 0000000049F0: D3D70088 0A02C110
	v_mfma_i32_16x16x32_i8 v[136:139], a[18:19], v[98:99], v[136:139]// 0000000049F8: D3D70088 0E22C512
	v_mfma_i32_16x16x32_i8 v[136:139], a[20:21], v[100:101], v[136:139]// 000000004A00: D3D70088 0E22C914
	v_mfma_i32_16x16x32_i8 v[136:139], a[22:23], v[102:103], v[136:139]// 000000004A08: D3D70088 0E22CD16
	v_mfma_i32_16x16x32_i8 v[140:143], a[24:25], v[96:97], 0   // 000000004A10: D3D7008C 0A02C118
	v_mfma_i32_16x16x32_i8 v[140:143], a[26:27], v[98:99], v[140:143]// 000000004A18: D3D7008C 0E32C51A
	v_mfma_i32_16x16x32_i8 v[140:143], a[28:29], v[100:101], v[140:143]// 000000004A20: D3D7008C 0E32C91C
	v_mfma_i32_16x16x32_i8 v[140:143], a[30:31], v[102:103], v[140:143]// 000000004A28: D3D7008C 0E32CD1E
	v_mov_b32_dpp v41, v52 row_shr:4 row_mask:0xf bank_mask:0xf// 000000004A30: 7E5202FA FF011434
	v_mov_b32_dpp v42, v52 row_shl:4 row_mask:0xf bank_mask:0xf// 000000004A38: 7E5402FA FF010434
	v_cndmask_b32_e64 v248, v52, v41, s[44:45]                 // 000000004A40: D10000F8 00B25334
	v_cndmask_b32_e64 v249, v42, v52, s[44:45]                 // 000000004A48: D10000F9 00B2692A
	v_mov_b32_dpp v41, v72 row_shr:4 row_mask:0xf bank_mask:0xf// 000000004A50: 7E5202FA FF011448
	v_mov_b32_dpp v42, v72 row_shl:4 row_mask:0xf bank_mask:0xf// 000000004A58: 7E5402FA FF010448
	v_cndmask_b32_e64 v252, v72, v41, s[44:45]                 // 000000004A60: D10000FC 00B25348
	v_cndmask_b32_e64 v253, v42, v72, s[44:45]                 // 000000004A68: D10000FD 00B2912A
	v_or_b32_dpp v128, v136, v128 row_shr:8 row_mask:0xf bank_mask:0xf bound_ctrl:1// 000000004A70: 290100FA FF091888
	v_or_b32_dpp v129, v137, v129 row_shr:8 row_mask:0xf bank_mask:0xf bound_ctrl:1// 000000004A78: 290302FA FF091889
	v_or_b32_dpp v130, v138, v130 row_shr:8 row_mask:0xf bank_mask:0xf bound_ctrl:1// 000000004A80: 290504FA FF09188A
	v_or_b32_dpp v131, v139, v131 row_shr:8 row_mask:0xf bank_mask:0xf bound_ctrl:1// 000000004A88: 290706FA FF09188B
	v_or_b32_dpp v132, v140, v132 row_shr:8 row_mask:0xf bank_mask:0xf bound_ctrl:1// 000000004A90: 290908FA FF09188C
	v_or_b32_dpp v133, v141, v133 row_shr:8 row_mask:0xf bank_mask:0xf bound_ctrl:1// 000000004A98: 290B0AFA FF09188D
	v_or_b32_dpp v134, v142, v134 row_shr:8 row_mask:0xf bank_mask:0xf bound_ctrl:1// 000000004AA0: 290D0CFA FF09188E
	v_or_b32_dpp v135, v143, v135 row_shr:8 row_mask:0xf bank_mask:0xf bound_ctrl:1// 000000004AA8: 290F0EFA FF09188F
	v_cvt_f32_i32_e32 v128, v128                               // 000000004AB0: 7F000B80
	v_cvt_f32_i32_e32 v129, v129                               // 000000004AB4: 7F020B81
	v_cvt_f32_i32_e32 v130, v130                               // 000000004AB8: 7F040B82
	v_cvt_f32_i32_e32 v131, v131                               // 000000004ABC: 7F060B83
	v_cvt_f32_i32_e32 v132, v132                               // 000000004AC0: 7F080B84
	v_cvt_f32_i32_e32 v133, v133                               // 000000004AC4: 7F0A0B85
	v_cvt_f32_i32_e32 v134, v134                               // 000000004AC8: 7F0C0B86
	v_cvt_f32_i32_e32 v135, v135                               // 000000004ACC: 7F0E0B87
	v_mul_f32_e32 v128, v54, v128                              // 000000004AD0: 0B010136
	v_mul_f32_e32 v129, v54, v129                              // 000000004AD4: 0B030336
	v_mul_f32_e32 v130, v54, v130                              // 000000004AD8: 0B050536
	v_mul_f32_e32 v131, v54, v131                              // 000000004ADC: 0B070736
	v_mul_f32_e32 v132, v54, v132                              // 000000004AE0: 0B090936
	v_mul_f32_e32 v133, v54, v133                              // 000000004AE4: 0B0B0B36
	v_mul_f32_e32 v134, v54, v134                              // 000000004AE8: 0B0D0D36
	v_mul_f32_e32 v135, v54, v135                              // 000000004AEC: 0B0F0F36
	v_mul_f32_dpp v128, v248, v128 quad_perm:[0,0,0,0] row_mask:0xf bank_mask:0xf// 000000004AF0: 0B0100FA FF0000F8
	v_mul_f32_dpp v129, v248, v129 quad_perm:[1,1,1,1] row_mask:0xf bank_mask:0xf// 000000004AF8: 0B0302FA FF0055F8
	v_mul_f32_dpp v130, v248, v130 quad_perm:[2,2,2,2] row_mask:0xf bank_mask:0xf// 000000004B00: 0B0504FA FF00AAF8
	v_mul_f32_dpp v131, v248, v131 quad_perm:[3,3,3,3] row_mask:0xf bank_mask:0xf// 000000004B08: 0B0706FA FF00FFF8
	v_mul_f32_dpp v132, v249, v132 quad_perm:[0,0,0,0] row_mask:0xf bank_mask:0xf// 000000004B10: 0B0908FA FF0000F9
	v_mul_f32_dpp v133, v249, v133 quad_perm:[1,1,1,1] row_mask:0xf bank_mask:0xf// 000000004B18: 0B0B0AFA FF0055F9
	v_mul_f32_dpp v134, v249, v134 quad_perm:[2,2,2,2] row_mask:0xf bank_mask:0xf// 000000004B20: 0B0D0CFA FF00AAF9
	v_mul_f32_dpp v135, v249, v135 quad_perm:[3,3,3,3] row_mask:0xf bank_mask:0xf// 000000004B28: 0B0F0EFA FF00FFF9
	s_and_b32 s60, s72, 0xff                                   // 000000004B30: 863CFF48 000000FF
	v_mov_b32_e32 v79, s60                                     // 000000004B38: 7E9E023C
	v_lshrrev_b32_e32 v240, 4, v0                              // 000000004B3C: 21E00084
	v_mul_i32_i24_e32 v240, 4, v240                            // 000000004B40: 0DE1E084
	v_and_b32_e32 v41, 15, v0                                  // 000000004B44: 2652008F
	v_lshrrev_b32_e32 v41, 3, v41                              // 000000004B48: 20525283
	v_mul_i32_i24_e32 v41, 0x80, v41                           // 000000004B4C: 0C5252FF 00000080
	v_add_u32_e32 v240, v41, v240                              // 000000004B54: 69E1E129
	s_mul_i32 s60, s7, 16                                      // 000000004B58: 923C9007
	v_add_u32_e32 v240, s60, v240                              // 000000004B5C: 69E1E03C
	v_add_u32_e32 v241, 1, v240                                // 000000004B60: 69E3E081
	v_add_u32_e32 v242, 2, v240                                // 000000004B64: 69E5E082
	v_add_u32_e32 v243, 3, v240                                // 000000004B68: 69E7E083
	v_cmp_lt_u32_e64 s[40:41], v240, v79                       // 000000004B6C: D0C90028 00029FF0
	v_add_u32_e32 v240, 64, v240                               // 000000004B74: 69E1E0C0
	s_nop 0                                                    // 000000004B78: BF800000
	v_cndmask_b32_e64 v128, v69, v128, s[40:41]                // 000000004B7C: D1000080 00A30145
	v_cmp_lt_u32_e64 s[40:41], v241, v79                       // 000000004B84: D0C90028 00029FF1
	v_add_u32_e32 v241, 64, v241                               // 000000004B8C: 69E3E2C0
	s_nop 0                                                    // 000000004B90: BF800000
	v_cndmask_b32_e64 v129, v69, v129, s[40:41]                // 000000004B94: D1000081 00A30345
	v_cmp_lt_u32_e64 s[40:41], v242, v79                       // 000000004B9C: D0C90028 00029FF2
	v_add_u32_e32 v242, 64, v242                               // 000000004BA4: 69E5E4C0
	s_nop 0                                                    // 000000004BA8: BF800000
	v_cndmask_b32_e64 v130, v69, v130, s[40:41]                // 000000004BAC: D1000082 00A30545
	v_cmp_lt_u32_e64 s[40:41], v243, v79                       // 000000004BB4: D0C90028 00029FF3
	v_add_u32_e32 v243, 64, v243                               // 000000004BBC: 69E7E6C0
	s_nop 0                                                    // 000000004BC0: BF800000
	v_cndmask_b32_e64 v131, v69, v131, s[40:41]                // 000000004BC4: D1000083 00A30745
	v_cmp_lt_u32_e64 s[40:41], v240, v79                       // 000000004BCC: D0C90028 00029FF0
	v_add_u32_e32 v240, 64, v240                               // 000000004BD4: 69E1E0C0
	s_nop 0                                                    // 000000004BD8: BF800000
	v_cndmask_b32_e64 v132, v69, v132, s[40:41]                // 000000004BDC: D1000084 00A30945
	v_cmp_lt_u32_e64 s[40:41], v241, v79                       // 000000004BE4: D0C90028 00029FF1
	v_add_u32_e32 v241, 64, v241                               // 000000004BEC: 69E3E2C0
	s_nop 0                                                    // 000000004BF0: BF800000
	v_cndmask_b32_e64 v133, v69, v133, s[40:41]                // 000000004BF4: D1000085 00A30B45
	v_cmp_lt_u32_e64 s[40:41], v242, v79                       // 000000004BFC: D0C90028 00029FF2
	v_add_u32_e32 v242, 64, v242                               // 000000004C04: 69E5E4C0
	s_nop 0                                                    // 000000004C08: BF800000
	v_cndmask_b32_e64 v134, v69, v134, s[40:41]                // 000000004C0C: D1000086 00A30D45
	v_cmp_lt_u32_e64 s[40:41], v243, v79                       // 000000004C14: D0C90028 00029FF3
	v_add_u32_e32 v243, 64, v243                               // 000000004C1C: 69E7E6C0
	s_nop 0                                                    // 000000004C20: BF800000
	v_cndmask_b32_e64 v135, v69, v135, s[40:41]                // 000000004C24: D1000087 00A30F45
	v_mov_b32_e32 v62, v128                                    // 000000004C2C: 7E7C0380
	v_max3_f32 v62, v128, v129, v62                            // 000000004C30: D1D3003E 04FB0380
	v_max3_f32 v62, v130, v131, v62                            // 000000004C38: D1D3003E 04FB0782
	v_max3_f32 v62, v132, v133, v62                            // 000000004C40: D1D3003E 04FB0B84
	v_max3_f32 v62, v134, v135, v62                            // 000000004C48: D1D3003E 04FB0F86
	ds_write_b32 v11, v62 offset:16896                         // 000000004C50: D81A4200 00003E0B
	v_mul_u32_u24_dpp v41, v20, v68 row_newbcast:1 row_mask:0xf bank_mask:0xf// 000000004C58: 105288FA FF015114
	v_mul_u32_u24_dpp v42, v20, v68 row_newbcast:5 row_mask:0xf bank_mask:0xf// 000000004C60: 105488FA FF015514
	v_mul_u32_u24_dpp v43, v20, v68 row_newbcast:9 row_mask:0xf bank_mask:0xf// 000000004C68: 105688FA FF015914
	v_mul_u32_u24_dpp v44, v20, v68 row_newbcast:13 row_mask:0xf bank_mask:0xf// 000000004C70: 105888FA FF015D14
	v_add_u32_e32 v37, v41, v7                                 // 000000004C78: 684A0F29
	v_add_u32_e32 v38, v42, v7                                 // 000000004C7C: 684C0F2A
	v_add_u32_e32 v39, v43, v7                                 // 000000004C80: 684E0F2B
	v_add_u32_e32 v40, v44, v7                                 // 000000004C84: 68500F2C
	s_waitcnt lgkmcnt(0)                                       // 000000004C88: BF8CC07F
	s_barrier                                                  // 000000004C8C: BF8A0000
	ds_read_b32 v80, v10 offset:16896                          // 000000004C90: D86C4200 5000000A
	ds_read_b32 v81, v10 offset:16960                          // 000000004C98: D86C4240 5100000A
	ds_read_b32 v82, v10 offset:17024                          // 000000004CA0: D86C4280 5200000A
	ds_read_b32 v83, v10 offset:17088                          // 000000004CA8: D86C42C0 5300000A
	ds_read_b32 v84, v10 offset:17152                          // 000000004CB0: D86C4300 5400000A
	ds_read_b32 v85, v10 offset:17216                          // 000000004CB8: D86C4340 5500000A
	ds_read_b32 v86, v10 offset:17280                          // 000000004CC0: D86C4380 5600000A
	ds_read_b32 v87, v10 offset:17344                          // 000000004CC8: D86C43C0 5700000A
	ds_read_b32 v88, v10 offset:17408                          // 000000004CD0: D86C4400 5800000A
	ds_read_b32 v89, v10 offset:17472                          // 000000004CD8: D86C4440 5900000A
	ds_read_b32 v90, v10 offset:17536                          // 000000004CE0: D86C4480 5A00000A
	ds_read_b32 v91, v10 offset:17600                          // 000000004CE8: D86C44C0 5B00000A
	ds_read_b32 v92, v10 offset:17664                          // 000000004CF0: D86C4500 5C00000A
	ds_read_b32 v93, v10 offset:17728                          // 000000004CF8: D86C4540 5D00000A
	ds_read_b32 v94, v10 offset:17792                          // 000000004D00: D86C4580 5E00000A
	ds_read_b32 v95, v10 offset:17856                          // 000000004D08: D86C45C0 5F00000A
	v_mul_f32_e32 v224, v63, v224                              // 000000004D10: 0BC1C13F
	v_mul_f32_e32 v225, v63, v225                              // 000000004D14: 0BC3C33F
	v_mul_f32_e32 v226, v63, v226                              // 000000004D18: 0BC5C53F
	v_mul_f32_e32 v227, v63, v227                              // 000000004D1C: 0BC7C73F
	v_or_b32_dpp v192, v196, v192 row_shr:8 row_mask:0xf bank_mask:0xf bound_ctrl:1// 000000004D20: 298180FA FF0918C4
	v_or_b32_dpp v193, v197, v193 row_shr:8 row_mask:0xf bank_mask:0xf bound_ctrl:1// 000000004D28: 298382FA FF0918C5
	v_or_b32_dpp v194, v198, v194 row_shr:8 row_mask:0xf bank_mask:0xf bound_ctrl:1// 000000004D30: 298584FA FF0918C6
	v_or_b32_dpp v195, v199, v195 row_shr:8 row_mask:0xf bank_mask:0xf bound_ctrl:1// 000000004D38: 298786FA FF0918C7
	s_waitcnt lgkmcnt(0)                                       // 000000004D40: BF8CC07F
	v_max3_f32 v62, v80, v81, v62                              // 000000004D44: D1D3003E 04FAA350
	v_max3_f32 v62, v82, v83, v62                              // 000000004D4C: D1D3003E 04FAA752
	v_max3_f32 v62, v84, v85, v62                              // 000000004D54: D1D3003E 04FAAB54
	v_max3_f32 v62, v86, v87, v62                              // 000000004D5C: D1D3003E 04FAAF56
	v_max3_f32 v62, v88, v89, v62                              // 000000004D64: D1D3003E 04FAB358
	v_max3_f32 v62, v90, v91, v62                              // 000000004D6C: D1D3003E 04FAB75A
	v_max3_f32 v62, v92, v93, v62                              // 000000004D74: D1D3003E 04FABB5C
	v_max3_f32 v62, v94, v95, v62                              // 000000004D7C: D1D3003E 04FABF5E
	v_cmp_eq_u32_e64 s[40:41], v69, v14                        // 000000004D84: D0CA0028 00021D45
	s_nop 1                                                    // 000000004D8C: BF800001
	v_mov_b32_dpp v41, v62 row_ror:8 row_mask:0xf bank_mask:0xf// 000000004D90: 7E5202FA FF01283E
	v_max_f32_e32 v62, v62, v41                                // 000000004D98: 167C533E
	v_max_f32_e32 v18, v62, v14                                // 000000004D9C: 16241D3E
	v_mul_f32_e32 v67, s64, v18                                // 000000004DA0: 0A862440
	v_fma_f32 v128, v128, s64, -v67                            // 000000004DA4: D1CB0080 850C8180
	v_fma_f32 v129, v129, s64, -v67                            // 000000004DAC: D1CB0081 850C8181
	v_fma_f32 v130, v130, s64, -v67                            // 000000004DB4: D1CB0082 850C8182
	v_fma_f32 v131, v131, s64, -v67                            // 000000004DBC: D1CB0083 850C8183
	v_fma_f32 v132, v132, s64, -v67                            // 000000004DC4: D1CB0084 850C8184
	v_fma_f32 v133, v133, s64, -v67                            // 000000004DCC: D1CB0085 850C8185
	v_fma_f32 v134, v134, s64, -v67                            // 000000004DD4: D1CB0086 850C8186
	v_fma_f32 v135, v135, s64, -v67                            // 000000004DDC: D1CB0087 850C8187
	v_exp_f32_e32 v128, v128                                   // 000000004DE4: 7F004180
	v_exp_f32_e32 v129, v129                                   // 000000004DE8: 7F024181
	v_exp_f32_e32 v130, v130                                   // 000000004DEC: 7F044182
	v_exp_f32_e32 v131, v131                                   // 000000004DF0: 7F064183
	v_exp_f32_e32 v132, v132                                   // 000000004DF4: 7F084184
	v_exp_f32_e32 v133, v133                                   // 000000004DF8: 7F0A4185
	v_exp_f32_e32 v134, v134                                   // 000000004DFC: 7F0C4186
	v_exp_f32_e32 v135, v135                                   // 000000004E00: 7F0E4187
	v_mul_f32_dpp v240, v252, v128 quad_perm:[0,0,0,0] row_mask:0xf bank_mask:0xf// 000000004E04: 0BE100FA FF0000FC
	v_mul_f32_dpp v241, v252, v129 quad_perm:[1,1,1,1] row_mask:0xf bank_mask:0xf// 000000004E0C: 0BE302FA FF0055FC
	v_mul_f32_dpp v242, v252, v130 quad_perm:[2,2,2,2] row_mask:0xf bank_mask:0xf// 000000004E14: 0BE504FA FF00AAFC
	v_mul_f32_dpp v243, v252, v131 quad_perm:[3,3,3,3] row_mask:0xf bank_mask:0xf// 000000004E1C: 0BE706FA FF00FFFC
	v_mul_f32_dpp v244, v253, v132 quad_perm:[0,0,0,0] row_mask:0xf bank_mask:0xf// 000000004E24: 0BE908FA FF0000FD
	v_mul_f32_dpp v245, v253, v133 quad_perm:[1,1,1,1] row_mask:0xf bank_mask:0xf// 000000004E2C: 0BEB0AFA FF0055FD
	v_mul_f32_dpp v246, v253, v134 quad_perm:[2,2,2,2] row_mask:0xf bank_mask:0xf// 000000004E34: 0BED0CFA FF00AAFD
	v_mul_f32_dpp v247, v253, v135 quad_perm:[3,3,3,3] row_mask:0xf bank_mask:0xf// 000000004E3C: 0BEF0EFA FF00FFFD
	v_mov_b32_e32 v62, 0x358637bd                              // 000000004E44: 7E7C02FF 358637BD
	v_max3_f32 v62, |v240|, |v241|, v62                        // 000000004E4C: D1D3033E 04FBE3F0
	v_max3_f32 v62, |v242|, |v243|, v62                        // 000000004E54: D1D3033E 04FBE7F2
	v_max3_f32 v62, |v244|, |v245|, v62                        // 000000004E5C: D1D3033E 04FBEBF4
	v_max3_f32 v62, |v246|, |v247|, v62                        // 000000004E64: D1D3033E 04FBEFF6
	ds_write_b32 v11, v62 offset:20992                         // 000000004E6C: D81A5200 00003E0B
	v_sub_f32_e32 v63, v14, v18                                // 000000004E74: 047E250E
	v_cndmask_b32_e64 v63, v63, 0, s[40:41]                    // 000000004E78: D100003F 00A1013F
	v_mov_b32_e32 v14, v18                                     // 000000004E80: 7E1C0312
	v_mul_f32_e32 v63, s64, v63                                // 000000004E84: 0A7E7E40
	v_exp_f32_e32 v63, v63                                     // 000000004E88: 7E7E413F
	s_waitcnt lgkmcnt(0)                                       // 000000004E8C: BF8CC07F
	s_barrier                                                  // 000000004E90: BF8A0000
	ds_read_b32 v80, v10 offset:20992                          // 000000004E94: D86C5200 5000000A
	ds_read_b32 v81, v10 offset:21056                          // 000000004E9C: D86C5240 5100000A
	ds_read_b32 v82, v10 offset:21120                          // 000000004EA4: D86C5280 5200000A
	ds_read_b32 v83, v10 offset:21184                          // 000000004EAC: D86C52C0 5300000A
	ds_read_b32 v84, v10 offset:21248                          // 000000004EB4: D86C5300 5400000A
	ds_read_b32 v85, v10 offset:21312                          // 000000004EBC: D86C5340 5500000A
	ds_read_b32 v86, v10 offset:21376                          // 000000004EC4: D86C5380 5600000A
	ds_read_b32 v87, v10 offset:21440                          // 000000004ECC: D86C53C0 5700000A
	ds_read_b32 v88, v10 offset:21504                          // 000000004ED4: D86C5400 5800000A
	ds_read_b32 v89, v10 offset:21568                          // 000000004EDC: D86C5440 5900000A
	ds_read_b32 v90, v10 offset:21632                          // 000000004EE4: D86C5480 5A00000A
	ds_read_b32 v91, v10 offset:21696                          // 000000004EEC: D86C54C0 5B00000A
	ds_read_b32 v92, v10 offset:21760                          // 000000004EF4: D86C5500 5C00000A
	ds_read_b32 v93, v10 offset:21824                          // 000000004EFC: D86C5540 5D00000A
	ds_read_b32 v94, v10 offset:21888                          // 000000004F04: D86C5580 5E00000A
	ds_read_b32 v95, v10 offset:21952                          // 000000004F0C: D86C55C0 5F00000A
	v_mul_f32_e32 v47, v63, v47                                // 000000004F14: 0A5E5F3F
	v_mov_b32_e32 v51, v128                                    // 000000004F18: 7E660380
	v_add_f32_e32 v51, v129, v51                               // 000000004F1C: 02666781
	v_add_f32_e32 v51, v130, v51                               // 000000004F20: 02666782
	v_add_f32_e32 v51, v131, v51                               // 000000004F24: 02666783
	v_add_f32_e32 v51, v132, v51                               // 000000004F28: 02666784
	v_add_f32_e32 v51, v133, v51                               // 000000004F2C: 02666785
	v_add_f32_e32 v51, v134, v51                               // 000000004F30: 02666786
	v_add_f32_e32 v51, v135, v51                               // 000000004F34: 02666787
	v_add_f32_e32 v47, v51, v47                                // 000000004F38: 025E5F33
	s_waitcnt lgkmcnt(0)                                       // 000000004F3C: BF8CC07F
	v_max3_f32 v62, |v80|, |v81|, v62                          // 000000004F40: D1D3033E 04FAA350
	v_max3_f32 v62, |v82|, |v83|, v62                          // 000000004F48: D1D3033E 04FAA752
	v_max3_f32 v62, |v84|, |v85|, v62                          // 000000004F50: D1D3033E 04FAAB54
	v_max3_f32 v62, |v86|, |v87|, v62                          // 000000004F58: D1D3033E 04FAAF56
	v_max3_f32 v62, |v88|, |v89|, v62                          // 000000004F60: D1D3033E 04FAB358
	v_max3_f32 v62, |v90|, |v91|, v62                          // 000000004F68: D1D3033E 04FAB75A
	v_max3_f32 v62, |v92|, |v93|, v62                          // 000000004F70: D1D3033E 04FABB5C
	v_max3_f32 v62, |v94|, |v95|, v62                          // 000000004F78: D1D3033E 04FABF5E
	s_nop 2                                                    // 000000004F80: BF800002
	v_mov_b32_dpp v41, v62 row_ror:8 row_mask:0xf bank_mask:0xf// 000000004F84: 7E5202FA FF01283E
	v_max_f32_e32 v62, v62, v41                                // 000000004F8C: 167C533E
	v_rcp_f32_e32 v62, v62                                     // 000000004F90: 7E7C453E
	s_nop 1                                                    // 000000004F94: BF800001
	v_mul_f32_e32 v62, 0x42fe0000, v62                         // 000000004F98: 0A7C7CFF 42FE0000
	v_mul_f32_e32 v128, v62, v240                              // 000000004FA0: 0B01E13E
	v_mul_f32_e32 v129, v62, v241                              // 000000004FA4: 0B03E33E
	v_mul_f32_e32 v130, v62, v242                              // 000000004FA8: 0B05E53E
	v_mul_f32_e32 v131, v62, v243                              // 000000004FAC: 0B07E73E
	v_mul_f32_e32 v132, v62, v244                              // 000000004FB0: 0B09E93E
	v_mul_f32_e32 v133, v62, v245                              // 000000004FB4: 0B0BEB3E
	v_mul_f32_e32 v134, v62, v246                              // 000000004FB8: 0B0DED3E
	v_mul_f32_e32 v135, v62, v247                              // 000000004FBC: 0B0FEF3E
	v_cvt_i32_f32_e32 v128, v128                               // 000000004FC0: 7F001180
	v_cvt_i32_f32_e32 v129, v129                               // 000000004FC4: 7F021181
	v_cvt_i32_f32_e32 v130, v130                               // 000000004FC8: 7F041182
	v_cvt_i32_f32_e32 v131, v131                               // 000000004FCC: 7F061183
	v_cvt_i32_f32_e32 v132, v132                               // 000000004FD0: 7F081184
	v_cvt_i32_f32_e32 v133, v133                               // 000000004FD4: 7F0A1185
	v_cvt_i32_f32_e32 v134, v134                               // 000000004FD8: 7F0C1186
	v_cvt_i32_f32_e32 v135, v135                               // 000000004FDC: 7F0E1187
	v_perm_b32 v128, v129, v128, s53                           // 000000004FE0: D1ED0080 00D70181
	v_perm_b32 v128, v130, v128, s54                           // 000000004FE8: D1ED0080 00DB0182
	v_perm_b32 v128, v131, v128, s55                           // 000000004FF0: D1ED0080 00DF0183
	v_perm_b32 v129, v133, v132, s53                           // 000000004FF8: D1ED0081 00D70985
	v_perm_b32 v129, v134, v129, s54                           // 000000005000: D1ED0081 00DB0386
	v_perm_b32 v129, v135, v129, s55                           // 000000005008: D1ED0081 00DF0387
	ds_write_b32 v13, v128 offset:25088                        // 000000005010: D81A6200 0000800D
	ds_write_b32 v13, v129 offset:26112                        // 000000005018: D81A6600 0000810D
	v_cvt_f32_i32_e32 v192, v192                               // 000000005020: 7F800BC0
	v_cvt_f32_i32_e32 v193, v193                               // 000000005024: 7F820BC1
	v_cvt_f32_i32_e32 v194, v194                               // 000000005028: 7F840BC2
	v_cvt_f32_i32_e32 v195, v195                               // 00000000502C: 7F860BC3
	v_mul_f32_e32 v192, v58, v192                              // 000000005030: 0B81813A
	v_mul_f32_e32 v193, v58, v193                              // 000000005034: 0B83833A
	v_mul_f32_e32 v194, v58, v194                              // 000000005038: 0B85853A
	v_mul_f32_e32 v195, v58, v195                              // 00000000503C: 0B87873A
	v_rcp_f32_e32 v58, v62                                     // 000000005040: 7E74453E
	s_waitcnt lgkmcnt(0)                                       // 000000005044: BF8CC07F
	s_barrier                                                  // 000000005048: BF8A0000
	ds_read_b64 v[128:129], v12 offset:25088                   // 00000000504C: D8EC6200 8000000C
	ds_read_b64 v[130:131], v12 offset:25216                   // 000000005054: D8EC6280 8200000C
	ds_read_b64 v[132:133], v12 offset:26112                   // 00000000505C: D8EC6600 8400000C
	ds_read_b64 v[134:135], v12 offset:26240                   // 000000005064: D8EC6680 8600000C
	v_add_f32_e32 v224, v224, v192                             // 00000000506C: 03C181E0
	v_add_f32_e32 v225, v225, v193                             // 000000005070: 03C383E1
	v_add_f32_e32 v226, v226, v194                             // 000000005074: 03C585E2
	v_add_f32_e32 v227, v227, v195                             // 000000005078: 03C787E3
	s_waitcnt lgkmcnt(3)                                       // 00000000507C: BF8CC37F
	v_mov_b32_dpp v136, v128 row_shl:8 row_mask:0xf bank_mask:0xf bound_ctrl:1// 000000005080: 7F1002FA FF090880
	v_and_b32_e32 v128, v128, v9                               // 000000005088: 27001380
	v_mov_b32_dpp v137, v129 row_shl:8 row_mask:0xf bank_mask:0xf bound_ctrl:1// 00000000508C: 7F1202FA FF090881
	v_and_b32_e32 v129, v129, v9                               // 000000005094: 27021381
	s_waitcnt lgkmcnt(2)                                       // 000000005098: BF8CC27F
	v_mov_b32_dpp v138, v130 row_shl:8 row_mask:0xf bank_mask:0xf bound_ctrl:1// 00000000509C: 7F1402FA FF090882
	v_and_b32_e32 v130, v130, v9                               // 0000000050A4: 27041382
	v_mov_b32_dpp v139, v131 row_shl:8 row_mask:0xf bank_mask:0xf bound_ctrl:1// 0000000050A8: 7F1602FA FF090883
	v_and_b32_e32 v131, v131, v9                               // 0000000050B0: 27061383
	s_waitcnt lgkmcnt(1)                                       // 0000000050B4: BF8CC17F
	v_mov_b32_dpp v140, v132 row_shl:8 row_mask:0xf bank_mask:0xf bound_ctrl:1// 0000000050B8: 7F1802FA FF090884
	v_and_b32_e32 v132, v132, v9                               // 0000000050C0: 27081384
	v_mov_b32_dpp v141, v133 row_shl:8 row_mask:0xf bank_mask:0xf bound_ctrl:1// 0000000050C4: 7F1A02FA FF090885
	v_and_b32_e32 v133, v133, v9                               // 0000000050CC: 270A1385
	s_waitcnt lgkmcnt(0)                                       // 0000000050D0: BF8CC07F
	v_mov_b32_dpp v142, v134 row_shl:8 row_mask:0xf bank_mask:0xf bound_ctrl:1// 0000000050D4: 7F1C02FA FF090886
	v_and_b32_e32 v134, v134, v9                               // 0000000050DC: 270C1386
	v_mov_b32_dpp v143, v135 row_shl:8 row_mask:0xf bank_mask:0xf bound_ctrl:1// 0000000050E0: 7F1E02FA FF090887
	v_and_b32_e32 v135, v135, v9                               // 0000000050E8: 270E1387
	s_waitcnt vmcnt(0)                                         // 0000000050EC: BF8C0F70
	s_barrier                                                  // 0000000050F0: BF8A0000
	v_mfma_i32_16x16x32_i8 v[192:195], a[64:65], v[128:129], 0 // 0000000050F4: D3D700C0 0A030140
	v_mfma_i32_16x16x32_i8 v[192:195], a[66:67], v[130:131], v[192:195]// 0000000050FC: D3D700C0 0F030542
	v_mfma_i32_16x16x32_i8 v[192:195], a[68:69], v[132:133], v[192:195]// 000000005104: D3D700C0 0F030944
	v_mfma_i32_16x16x32_i8 v[192:195], a[70:71], v[134:135], v[192:195]// 00000000510C: D3D700C0 0F030D46
	v_mfma_i32_16x16x32_i8 v[192:195], a[72:73], v[136:137], v[192:195]// 000000005114: D3D700C0 0F031148
	v_mfma_i32_16x16x32_i8 v[192:195], a[74:75], v[138:139], v[192:195]// 00000000511C: D3D700C0 0F03154A
	v_mfma_i32_16x16x32_i8 v[192:195], a[76:77], v[140:141], v[192:195]// 000000005124: D3D700C0 0F03194C
	v_mfma_i32_16x16x32_i8 v[192:195], a[78:79], v[142:143], v[192:195]// 00000000512C: D3D700C0 0F031D4E
	v_mfma_i32_16x16x32_i8 v[196:199], a[80:81], v[128:129], 0 // 000000005134: D3D700C4 0A030150
	v_mfma_i32_16x16x32_i8 v[196:199], a[82:83], v[130:131], v[196:199]// 00000000513C: D3D700C4 0F130552
	v_mfma_i32_16x16x32_i8 v[196:199], a[84:85], v[132:133], v[196:199]// 000000005144: D3D700C4 0F130954
	v_mfma_i32_16x16x32_i8 v[196:199], a[86:87], v[134:135], v[196:199]// 00000000514C: D3D700C4 0F130D56
	v_mfma_i32_16x16x32_i8 v[196:199], a[88:89], v[136:137], v[196:199]// 000000005154: D3D700C4 0F131158
	v_mfma_i32_16x16x32_i8 v[196:199], a[90:91], v[138:139], v[196:199]// 00000000515C: D3D700C4 0F13155A
	v_mfma_i32_16x16x32_i8 v[196:199], a[92:93], v[140:141], v[196:199]// 000000005164: D3D700C4 0F13195C
	v_mfma_i32_16x16x32_i8 v[196:199], a[94:95], v[142:143], v[196:199]// 00000000516C: D3D700C4 0F131D5E
	s_nop 4                                                    // 000000005174: BF800004
	s_branch label_0DD4                                        // 000000005178: BF8201F5

000000000000517c <label_0BDF>:
	s_waitcnt vmcnt(8) lgkmcnt(0)                              // 00000000517C: BF8C0078
	s_barrier                                                  // 000000005180: BF8A0000
	v_mfma_i32_16x16x32_i8 v[128:131], a[32:33], v[96:97], 0   // 000000005184: D3D70080 0A02C120
	v_mfma_i32_16x16x32_i8 v[128:131], a[34:35], v[98:99], v[128:131]// 00000000518C: D3D70080 0E02C522
	v_mfma_i32_16x16x32_i8 v[128:131], a[36:37], v[100:101], v[128:131]// 000000005194: D3D70080 0E02C924
	v_mfma_i32_16x16x32_i8 v[128:131], a[38:39], v[102:103], v[128:131]// 00000000519C: D3D70080 0E02CD26
	v_mfma_i32_16x16x32_i8 v[132:135], a[40:41], v[96:97], 0   // 0000000051A4: D3D70084 0A02C128
	v_mfma_i32_16x16x32_i8 v[132:135], a[42:43], v[98:99], v[132:135]// 0000000051AC: D3D70084 0E12C52A
	v_mfma_i32_16x16x32_i8 v[132:135], a[44:45], v[100:101], v[132:135]// 0000000051B4: D3D70084 0E12C92C
	v_mfma_i32_16x16x32_i8 v[132:135], a[46:47], v[102:103], v[132:135]// 0000000051BC: D3D70084 0E12CD2E
	v_mfma_i32_16x16x32_i8 v[136:139], a[48:49], v[96:97], 0   // 0000000051C4: D3D70088 0A02C130
	v_mfma_i32_16x16x32_i8 v[136:139], a[50:51], v[98:99], v[136:139]// 0000000051CC: D3D70088 0E22C532
	v_mfma_i32_16x16x32_i8 v[136:139], a[52:53], v[100:101], v[136:139]// 0000000051D4: D3D70088 0E22C934
	v_mfma_i32_16x16x32_i8 v[136:139], a[54:55], v[102:103], v[136:139]// 0000000051DC: D3D70088 0E22CD36
	v_mfma_i32_16x16x32_i8 v[140:143], a[56:57], v[96:97], 0   // 0000000051E4: D3D7008C 0A02C138
	v_mfma_i32_16x16x32_i8 v[140:143], a[58:59], v[98:99], v[140:143]// 0000000051EC: D3D7008C 0E32C53A
	v_mfma_i32_16x16x32_i8 v[140:143], a[60:61], v[100:101], v[140:143]// 0000000051F4: D3D7008C 0E32C93C
	v_mfma_i32_16x16x32_i8 v[140:143], a[62:63], v[102:103], v[140:143]// 0000000051FC: D3D7008C 0E32CD3E
	v_mov_b32_dpp v41, v53 row_shr:4 row_mask:0xf bank_mask:0xf// 000000005204: 7E5202FA FF011435
	v_mov_b32_dpp v42, v53 row_shl:4 row_mask:0xf bank_mask:0xf// 00000000520C: 7E5402FA FF010435
	v_cndmask_b32_e64 v248, v53, v41, s[44:45]                 // 000000005214: D10000F8 00B25335
	v_cndmask_b32_e64 v249, v42, v53, s[44:45]                 // 00000000521C: D10000F9 00B26B2A
	v_mov_b32_dpp v41, v73 row_shr:4 row_mask:0xf bank_mask:0xf// 000000005224: 7E5202FA FF011449
	v_mov_b32_dpp v42, v73 row_shl:4 row_mask:0xf bank_mask:0xf// 00000000522C: 7E5402FA FF010449
	v_cndmask_b32_e64 v252, v73, v41, s[44:45]                 // 000000005234: D10000FC 00B25349
	v_cndmask_b32_e64 v253, v42, v73, s[44:45]                 // 00000000523C: D10000FD 00B2932A
	v_or_b32_dpp v128, v136, v128 row_shr:8 row_mask:0xf bank_mask:0xf bound_ctrl:1// 000000005244: 290100FA FF091888
	v_or_b32_dpp v129, v137, v129 row_shr:8 row_mask:0xf bank_mask:0xf bound_ctrl:1// 00000000524C: 290302FA FF091889
	v_or_b32_dpp v130, v138, v130 row_shr:8 row_mask:0xf bank_mask:0xf bound_ctrl:1// 000000005254: 290504FA FF09188A
	v_or_b32_dpp v131, v139, v131 row_shr:8 row_mask:0xf bank_mask:0xf bound_ctrl:1// 00000000525C: 290706FA FF09188B
	v_or_b32_dpp v132, v140, v132 row_shr:8 row_mask:0xf bank_mask:0xf bound_ctrl:1// 000000005264: 290908FA FF09188C
	v_or_b32_dpp v133, v141, v133 row_shr:8 row_mask:0xf bank_mask:0xf bound_ctrl:1// 00000000526C: 290B0AFA FF09188D
	v_or_b32_dpp v134, v142, v134 row_shr:8 row_mask:0xf bank_mask:0xf bound_ctrl:1// 000000005274: 290D0CFA FF09188E
	v_or_b32_dpp v135, v143, v135 row_shr:8 row_mask:0xf bank_mask:0xf bound_ctrl:1// 00000000527C: 290F0EFA FF09188F
	v_cvt_f32_i32_e32 v128, v128                               // 000000005284: 7F000B80
	v_cvt_f32_i32_e32 v129, v129                               // 000000005288: 7F020B81
	v_cvt_f32_i32_e32 v130, v130                               // 00000000528C: 7F040B82
	v_cvt_f32_i32_e32 v131, v131                               // 000000005290: 7F060B83
	v_cvt_f32_i32_e32 v132, v132                               // 000000005294: 7F080B84
	v_cvt_f32_i32_e32 v133, v133                               // 000000005298: 7F0A0B85
	v_cvt_f32_i32_e32 v134, v134                               // 00000000529C: 7F0C0B86
	v_cvt_f32_i32_e32 v135, v135                               // 0000000052A0: 7F0E0B87
	v_mul_f32_e32 v128, v54, v128                              // 0000000052A4: 0B010136
	v_mul_f32_e32 v129, v54, v129                              // 0000000052A8: 0B030336
	v_mul_f32_e32 v130, v54, v130                              // 0000000052AC: 0B050536
	v_mul_f32_e32 v131, v54, v131                              // 0000000052B0: 0B070736
	v_mul_f32_e32 v132, v54, v132                              // 0000000052B4: 0B090936
	v_mul_f32_e32 v133, v54, v133                              // 0000000052B8: 0B0B0B36
	v_mul_f32_e32 v134, v54, v134                              // 0000000052BC: 0B0D0D36
	v_mul_f32_e32 v135, v54, v135                              // 0000000052C0: 0B0F0F36
	v_mul_f32_dpp v128, v248, v128 quad_perm:[0,0,0,0] row_mask:0xf bank_mask:0xf// 0000000052C4: 0B0100FA FF0000F8
	v_mul_f32_dpp v129, v248, v129 quad_perm:[1,1,1,1] row_mask:0xf bank_mask:0xf// 0000000052CC: 0B0302FA FF0055F8
	v_mul_f32_dpp v130, v248, v130 quad_perm:[2,2,2,2] row_mask:0xf bank_mask:0xf// 0000000052D4: 0B0504FA FF00AAF8
	v_mul_f32_dpp v131, v248, v131 quad_perm:[3,3,3,3] row_mask:0xf bank_mask:0xf// 0000000052DC: 0B0706FA FF00FFF8
	v_mul_f32_dpp v132, v249, v132 quad_perm:[0,0,0,0] row_mask:0xf bank_mask:0xf// 0000000052E4: 0B0908FA FF0000F9
	v_mul_f32_dpp v133, v249, v133 quad_perm:[1,1,1,1] row_mask:0xf bank_mask:0xf// 0000000052EC: 0B0B0AFA FF0055F9
	v_mul_f32_dpp v134, v249, v134 quad_perm:[2,2,2,2] row_mask:0xf bank_mask:0xf// 0000000052F4: 0B0D0CFA FF00AAF9
	v_mul_f32_dpp v135, v249, v135 quad_perm:[3,3,3,3] row_mask:0xf bank_mask:0xf// 0000000052FC: 0B0F0EFA FF00FFF9
	s_and_b32 s60, s72, 0xff                                   // 000000005304: 863CFF48 000000FF
	v_mov_b32_e32 v79, s60                                     // 00000000530C: 7E9E023C
	v_lshrrev_b32_e32 v240, 4, v0                              // 000000005310: 21E00084
	v_mul_i32_i24_e32 v240, 4, v240                            // 000000005314: 0DE1E084
	v_and_b32_e32 v41, 15, v0                                  // 000000005318: 2652008F
	v_lshrrev_b32_e32 v41, 3, v41                              // 00000000531C: 20525283
	v_mul_i32_i24_e32 v41, 0x80, v41                           // 000000005320: 0C5252FF 00000080
	v_add_u32_e32 v240, v41, v240                              // 000000005328: 69E1E129
	s_mul_i32 s60, s7, 16                                      // 00000000532C: 923C9007
	v_add_u32_e32 v240, s60, v240                              // 000000005330: 69E1E03C
	v_add_u32_e32 v241, 1, v240                                // 000000005334: 69E3E081
	v_add_u32_e32 v242, 2, v240                                // 000000005338: 69E5E082
	v_add_u32_e32 v243, 3, v240                                // 00000000533C: 69E7E083
	v_cmp_lt_u32_e64 s[40:41], v240, v79                       // 000000005340: D0C90028 00029FF0
	v_add_u32_e32 v240, 64, v240                               // 000000005348: 69E1E0C0
	s_nop 0                                                    // 00000000534C: BF800000
	v_cndmask_b32_e64 v128, v69, v128, s[40:41]                // 000000005350: D1000080 00A30145
	v_cmp_lt_u32_e64 s[40:41], v241, v79                       // 000000005358: D0C90028 00029FF1
	v_add_u32_e32 v241, 64, v241                               // 000000005360: 69E3E2C0
	s_nop 0                                                    // 000000005364: BF800000
	v_cndmask_b32_e64 v129, v69, v129, s[40:41]                // 000000005368: D1000081 00A30345
	v_cmp_lt_u32_e64 s[40:41], v242, v79                       // 000000005370: D0C90028 00029FF2
	v_add_u32_e32 v242, 64, v242                               // 000000005378: 69E5E4C0
	s_nop 0                                                    // 00000000537C: BF800000
	v_cndmask_b32_e64 v130, v69, v130, s[40:41]                // 000000005380: D1000082 00A30545
	v_cmp_lt_u32_e64 s[40:41], v243, v79                       // 000000005388: D0C90028 00029FF3
	v_add_u32_e32 v243, 64, v243                               // 000000005390: 69E7E6C0
	s_nop 0                                                    // 000000005394: BF800000
	v_cndmask_b32_e64 v131, v69, v131, s[40:41]                // 000000005398: D1000083 00A30745
	v_cmp_lt_u32_e64 s[40:41], v240, v79                       // 0000000053A0: D0C90028 00029FF0
	v_add_u32_e32 v240, 64, v240                               // 0000000053A8: 69E1E0C0
	s_nop 0                                                    // 0000000053AC: BF800000
	v_cndmask_b32_e64 v132, v69, v132, s[40:41]                // 0000000053B0: D1000084 00A30945
	v_cmp_lt_u32_e64 s[40:41], v241, v79                       // 0000000053B8: D0C90028 00029FF1
	v_add_u32_e32 v241, 64, v241                               // 0000000053C0: 69E3E2C0
	s_nop 0                                                    // 0000000053C4: BF800000
	v_cndmask_b32_e64 v133, v69, v133, s[40:41]                // 0000000053C8: D1000085 00A30B45
	v_cmp_lt_u32_e64 s[40:41], v242, v79                       // 0000000053D0: D0C90028 00029FF2
	v_add_u32_e32 v242, 64, v242                               // 0000000053D8: 69E5E4C0
	s_nop 0                                                    // 0000000053DC: BF800000
	v_cndmask_b32_e64 v134, v69, v134, s[40:41]                // 0000000053E0: D1000086 00A30D45
	v_cmp_lt_u32_e64 s[40:41], v243, v79                       // 0000000053E8: D0C90028 00029FF3
	v_add_u32_e32 v243, 64, v243                               // 0000000053F0: 69E7E6C0
	s_nop 0                                                    // 0000000053F4: BF800000
	v_cndmask_b32_e64 v135, v69, v135, s[40:41]                // 0000000053F8: D1000087 00A30F45
	v_mov_b32_e32 v62, v128                                    // 000000005400: 7E7C0380
	v_max3_f32 v62, v128, v129, v62                            // 000000005404: D1D3003E 04FB0380
	v_max3_f32 v62, v130, v131, v62                            // 00000000540C: D1D3003E 04FB0782
	v_max3_f32 v62, v132, v133, v62                            // 000000005414: D1D3003E 04FB0B84
	v_max3_f32 v62, v134, v135, v62                            // 00000000541C: D1D3003E 04FB0F86
	ds_write_b32 v11, v62 offset:16896                         // 000000005424: D81A4200 00003E0B
	v_mul_u32_u24_dpp v41, v19, v68 row_newbcast:1 row_mask:0xf bank_mask:0xf// 00000000542C: 105288FA FF015113
	v_mul_u32_u24_dpp v42, v19, v68 row_newbcast:5 row_mask:0xf bank_mask:0xf// 000000005434: 105488FA FF015513
	v_mul_u32_u24_dpp v43, v19, v68 row_newbcast:9 row_mask:0xf bank_mask:0xf// 00000000543C: 105688FA FF015913
	v_mul_u32_u24_dpp v44, v19, v68 row_newbcast:13 row_mask:0xf bank_mask:0xf// 000000005444: 105888FA FF015D13
	v_add_u32_e32 v33, v41, v7                                 // 00000000544C: 68420F29
	v_add_u32_e32 v34, v42, v7                                 // 000000005450: 68440F2A
	v_add_u32_e32 v35, v43, v7                                 // 000000005454: 68460F2B
	v_add_u32_e32 v36, v44, v7                                 // 000000005458: 68480F2C
	s_waitcnt lgkmcnt(0)                                       // 00000000545C: BF8CC07F
	s_barrier                                                  // 000000005460: BF8A0000
	ds_read_b32 v80, v10 offset:16896                          // 000000005464: D86C4200 5000000A
	ds_read_b32 v81, v10 offset:16960                          // 00000000546C: D86C4240 5100000A
	ds_read_b32 v82, v10 offset:17024                          // 000000005474: D86C4280 5200000A
	ds_read_b32 v83, v10 offset:17088                          // 00000000547C: D86C42C0 5300000A
	ds_read_b32 v84, v10 offset:17152                          // 000000005484: D86C4300 5400000A
	ds_read_b32 v85, v10 offset:17216                          // 00000000548C: D86C4340 5500000A
	ds_read_b32 v86, v10 offset:17280                          // 000000005494: D86C4380 5600000A
	ds_read_b32 v87, v10 offset:17344                          // 00000000549C: D86C43C0 5700000A
	ds_read_b32 v88, v10 offset:17408                          // 0000000054A4: D86C4400 5800000A
	ds_read_b32 v89, v10 offset:17472                          // 0000000054AC: D86C4440 5900000A
	ds_read_b32 v90, v10 offset:17536                          // 0000000054B4: D86C4480 5A00000A
	ds_read_b32 v91, v10 offset:17600                          // 0000000054BC: D86C44C0 5B00000A
	ds_read_b32 v92, v10 offset:17664                          // 0000000054C4: D86C4500 5C00000A
	ds_read_b32 v93, v10 offset:17728                          // 0000000054CC: D86C4540 5D00000A
	ds_read_b32 v94, v10 offset:17792                          // 0000000054D4: D86C4580 5E00000A
	ds_read_b32 v95, v10 offset:17856                          // 0000000054DC: D86C45C0 5F00000A
	v_mul_f32_e32 v224, v63, v224                              // 0000000054E4: 0BC1C13F
	v_mul_f32_e32 v225, v63, v225                              // 0000000054E8: 0BC3C33F
	v_mul_f32_e32 v226, v63, v226                              // 0000000054EC: 0BC5C53F
	v_mul_f32_e32 v227, v63, v227                              // 0000000054F0: 0BC7C73F
	v_or_b32_dpp v192, v196, v192 row_shr:8 row_mask:0xf bank_mask:0xf bound_ctrl:1// 0000000054F4: 298180FA FF0918C4
	v_or_b32_dpp v193, v197, v193 row_shr:8 row_mask:0xf bank_mask:0xf bound_ctrl:1// 0000000054FC: 298382FA FF0918C5
	v_or_b32_dpp v194, v198, v194 row_shr:8 row_mask:0xf bank_mask:0xf bound_ctrl:1// 000000005504: 298584FA FF0918C6
	v_or_b32_dpp v195, v199, v195 row_shr:8 row_mask:0xf bank_mask:0xf bound_ctrl:1// 00000000550C: 298786FA FF0918C7
	s_waitcnt lgkmcnt(0)                                       // 000000005514: BF8CC07F
	v_max3_f32 v62, v80, v81, v62                              // 000000005518: D1D3003E 04FAA350
	v_max3_f32 v62, v82, v83, v62                              // 000000005520: D1D3003E 04FAA752
	v_max3_f32 v62, v84, v85, v62                              // 000000005528: D1D3003E 04FAAB54
	v_max3_f32 v62, v86, v87, v62                              // 000000005530: D1D3003E 04FAAF56
	v_max3_f32 v62, v88, v89, v62                              // 000000005538: D1D3003E 04FAB358
	v_max3_f32 v62, v90, v91, v62                              // 000000005540: D1D3003E 04FAB75A
	v_max3_f32 v62, v92, v93, v62                              // 000000005548: D1D3003E 04FABB5C
	v_max3_f32 v62, v94, v95, v62                              // 000000005550: D1D3003E 04FABF5E
	v_cmp_eq_u32_e64 s[40:41], v69, v14                        // 000000005558: D0CA0028 00021D45
	s_nop 1                                                    // 000000005560: BF800001
	v_mov_b32_dpp v41, v62 row_ror:8 row_mask:0xf bank_mask:0xf// 000000005564: 7E5202FA FF01283E
	v_max_f32_e32 v62, v62, v41                                // 00000000556C: 167C533E
	v_max_f32_e32 v18, v62, v14                                // 000000005570: 16241D3E
	v_mul_f32_e32 v67, s64, v18                                // 000000005574: 0A862440
	v_fma_f32 v128, v128, s64, -v67                            // 000000005578: D1CB0080 850C8180
	v_fma_f32 v129, v129, s64, -v67                            // 000000005580: D1CB0081 850C8181
	v_fma_f32 v130, v130, s64, -v67                            // 000000005588: D1CB0082 850C8182
	v_fma_f32 v131, v131, s64, -v67                            // 000000005590: D1CB0083 850C8183
	v_fma_f32 v132, v132, s64, -v67                            // 000000005598: D1CB0084 850C8184
	v_fma_f32 v133, v133, s64, -v67                            // 0000000055A0: D1CB0085 850C8185
	v_fma_f32 v134, v134, s64, -v67                            // 0000000055A8: D1CB0086 850C8186
	v_fma_f32 v135, v135, s64, -v67                            // 0000000055B0: D1CB0087 850C8187
	v_exp_f32_e32 v128, v128                                   // 0000000055B8: 7F004180
	v_exp_f32_e32 v129, v129                                   // 0000000055BC: 7F024181
	v_exp_f32_e32 v130, v130                                   // 0000000055C0: 7F044182
	v_exp_f32_e32 v131, v131                                   // 0000000055C4: 7F064183
	v_exp_f32_e32 v132, v132                                   // 0000000055C8: 7F084184
	v_exp_f32_e32 v133, v133                                   // 0000000055CC: 7F0A4185
	v_exp_f32_e32 v134, v134                                   // 0000000055D0: 7F0C4186
	v_exp_f32_e32 v135, v135                                   // 0000000055D4: 7F0E4187
	v_mul_f32_dpp v240, v252, v128 quad_perm:[0,0,0,0] row_mask:0xf bank_mask:0xf// 0000000055D8: 0BE100FA FF0000FC
	v_mul_f32_dpp v241, v252, v129 quad_perm:[1,1,1,1] row_mask:0xf bank_mask:0xf// 0000000055E0: 0BE302FA FF0055FC
	v_mul_f32_dpp v242, v252, v130 quad_perm:[2,2,2,2] row_mask:0xf bank_mask:0xf// 0000000055E8: 0BE504FA FF00AAFC
	v_mul_f32_dpp v243, v252, v131 quad_perm:[3,3,3,3] row_mask:0xf bank_mask:0xf// 0000000055F0: 0BE706FA FF00FFFC
	v_mul_f32_dpp v244, v253, v132 quad_perm:[0,0,0,0] row_mask:0xf bank_mask:0xf// 0000000055F8: 0BE908FA FF0000FD
	v_mul_f32_dpp v245, v253, v133 quad_perm:[1,1,1,1] row_mask:0xf bank_mask:0xf// 000000005600: 0BEB0AFA FF0055FD
	v_mul_f32_dpp v246, v253, v134 quad_perm:[2,2,2,2] row_mask:0xf bank_mask:0xf// 000000005608: 0BED0CFA FF00AAFD
	v_mul_f32_dpp v247, v253, v135 quad_perm:[3,3,3,3] row_mask:0xf bank_mask:0xf// 000000005610: 0BEF0EFA FF00FFFD
	v_mov_b32_e32 v62, 0x358637bd                              // 000000005618: 7E7C02FF 358637BD
	v_max3_f32 v62, |v240|, |v241|, v62                        // 000000005620: D1D3033E 04FBE3F0
	v_max3_f32 v62, |v242|, |v243|, v62                        // 000000005628: D1D3033E 04FBE7F2
	v_max3_f32 v62, |v244|, |v245|, v62                        // 000000005630: D1D3033E 04FBEBF4
	v_max3_f32 v62, |v246|, |v247|, v62                        // 000000005638: D1D3033E 04FBEFF6
	ds_write_b32 v11, v62 offset:20992                         // 000000005640: D81A5200 00003E0B
	v_sub_f32_e32 v63, v14, v18                                // 000000005648: 047E250E
	v_cndmask_b32_e64 v63, v63, 0, s[40:41]                    // 00000000564C: D100003F 00A1013F
	v_mov_b32_e32 v14, v18                                     // 000000005654: 7E1C0312
	v_mul_f32_e32 v63, s64, v63                                // 000000005658: 0A7E7E40
	v_exp_f32_e32 v63, v63                                     // 00000000565C: 7E7E413F
	s_waitcnt lgkmcnt(0)                                       // 000000005660: BF8CC07F
	s_barrier                                                  // 000000005664: BF8A0000
	ds_read_b32 v80, v10 offset:20992                          // 000000005668: D86C5200 5000000A
	ds_read_b32 v81, v10 offset:21056                          // 000000005670: D86C5240 5100000A
	ds_read_b32 v82, v10 offset:21120                          // 000000005678: D86C5280 5200000A
	ds_read_b32 v83, v10 offset:21184                          // 000000005680: D86C52C0 5300000A
	ds_read_b32 v84, v10 offset:21248                          // 000000005688: D86C5300 5400000A
	ds_read_b32 v85, v10 offset:21312                          // 000000005690: D86C5340 5500000A
	ds_read_b32 v86, v10 offset:21376                          // 000000005698: D86C5380 5600000A
	ds_read_b32 v87, v10 offset:21440                          // 0000000056A0: D86C53C0 5700000A
	ds_read_b32 v88, v10 offset:21504                          // 0000000056A8: D86C5400 5800000A
	ds_read_b32 v89, v10 offset:21568                          // 0000000056B0: D86C5440 5900000A
	ds_read_b32 v90, v10 offset:21632                          // 0000000056B8: D86C5480 5A00000A
	ds_read_b32 v91, v10 offset:21696                          // 0000000056C0: D86C54C0 5B00000A
	ds_read_b32 v92, v10 offset:21760                          // 0000000056C8: D86C5500 5C00000A
	ds_read_b32 v93, v10 offset:21824                          // 0000000056D0: D86C5540 5D00000A
	ds_read_b32 v94, v10 offset:21888                          // 0000000056D8: D86C5580 5E00000A
	ds_read_b32 v95, v10 offset:21952                          // 0000000056E0: D86C55C0 5F00000A
	v_mul_f32_e32 v47, v63, v47                                // 0000000056E8: 0A5E5F3F
	v_mov_b32_e32 v51, v128                                    // 0000000056EC: 7E660380
	v_add_f32_e32 v51, v129, v51                               // 0000000056F0: 02666781
	v_add_f32_e32 v51, v130, v51                               // 0000000056F4: 02666782
	v_add_f32_e32 v51, v131, v51                               // 0000000056F8: 02666783
	v_add_f32_e32 v51, v132, v51                               // 0000000056FC: 02666784
	v_add_f32_e32 v51, v133, v51                               // 000000005700: 02666785
	v_add_f32_e32 v51, v134, v51                               // 000000005704: 02666786
	v_add_f32_e32 v51, v135, v51                               // 000000005708: 02666787
	v_add_f32_e32 v47, v51, v47                                // 00000000570C: 025E5F33
	s_waitcnt lgkmcnt(0)                                       // 000000005710: BF8CC07F
	v_max3_f32 v62, |v80|, |v81|, v62                          // 000000005714: D1D3033E 04FAA350
	v_max3_f32 v62, |v82|, |v83|, v62                          // 00000000571C: D1D3033E 04FAA752
	v_max3_f32 v62, |v84|, |v85|, v62                          // 000000005724: D1D3033E 04FAAB54
	v_max3_f32 v62, |v86|, |v87|, v62                          // 00000000572C: D1D3033E 04FAAF56
	v_max3_f32 v62, |v88|, |v89|, v62                          // 000000005734: D1D3033E 04FAB358
	v_max3_f32 v62, |v90|, |v91|, v62                          // 00000000573C: D1D3033E 04FAB75A
	v_max3_f32 v62, |v92|, |v93|, v62                          // 000000005744: D1D3033E 04FABB5C
	v_max3_f32 v62, |v94|, |v95|, v62                          // 00000000574C: D1D3033E 04FABF5E
	s_nop 2                                                    // 000000005754: BF800002
	v_mov_b32_dpp v41, v62 row_ror:8 row_mask:0xf bank_mask:0xf// 000000005758: 7E5202FA FF01283E
	v_max_f32_e32 v62, v62, v41                                // 000000005760: 167C533E
	v_rcp_f32_e32 v62, v62                                     // 000000005764: 7E7C453E
	s_nop 1                                                    // 000000005768: BF800001
	v_mul_f32_e32 v62, 0x42fe0000, v62                         // 00000000576C: 0A7C7CFF 42FE0000
	v_mul_f32_e32 v128, v62, v240                              // 000000005774: 0B01E13E
	v_mul_f32_e32 v129, v62, v241                              // 000000005778: 0B03E33E
	v_mul_f32_e32 v130, v62, v242                              // 00000000577C: 0B05E53E
	v_mul_f32_e32 v131, v62, v243                              // 000000005780: 0B07E73E
	v_mul_f32_e32 v132, v62, v244                              // 000000005784: 0B09E93E
	v_mul_f32_e32 v133, v62, v245                              // 000000005788: 0B0BEB3E
	v_mul_f32_e32 v134, v62, v246                              // 00000000578C: 0B0DED3E
	v_mul_f32_e32 v135, v62, v247                              // 000000005790: 0B0FEF3E
	v_cvt_i32_f32_e32 v128, v128                               // 000000005794: 7F001180
	v_cvt_i32_f32_e32 v129, v129                               // 000000005798: 7F021181
	v_cvt_i32_f32_e32 v130, v130                               // 00000000579C: 7F041182
	v_cvt_i32_f32_e32 v131, v131                               // 0000000057A0: 7F061183
	v_cvt_i32_f32_e32 v132, v132                               // 0000000057A4: 7F081184
	v_cvt_i32_f32_e32 v133, v133                               // 0000000057A8: 7F0A1185
	v_cvt_i32_f32_e32 v134, v134                               // 0000000057AC: 7F0C1186
	v_cvt_i32_f32_e32 v135, v135                               // 0000000057B0: 7F0E1187
	v_perm_b32 v128, v129, v128, s53                           // 0000000057B4: D1ED0080 00D70181
	v_perm_b32 v128, v130, v128, s54                           // 0000000057BC: D1ED0080 00DB0182
	v_perm_b32 v128, v131, v128, s55                           // 0000000057C4: D1ED0080 00DF0183
	v_perm_b32 v129, v133, v132, s53                           // 0000000057CC: D1ED0081 00D70985
	v_perm_b32 v129, v134, v129, s54                           // 0000000057D4: D1ED0081 00DB0386
	v_perm_b32 v129, v135, v129, s55                           // 0000000057DC: D1ED0081 00DF0387
	ds_write_b32 v13, v128 offset:25088                        // 0000000057E4: D81A6200 0000800D
	ds_write_b32 v13, v129 offset:26112                        // 0000000057EC: D81A6600 0000810D
	v_cvt_f32_i32_e32 v192, v192                               // 0000000057F4: 7F800BC0
	v_cvt_f32_i32_e32 v193, v193                               // 0000000057F8: 7F820BC1
	v_cvt_f32_i32_e32 v194, v194                               // 0000000057FC: 7F840BC2
	v_cvt_f32_i32_e32 v195, v195                               // 000000005800: 7F860BC3
	v_mul_f32_e32 v192, v58, v192                              // 000000005804: 0B81813A
	v_mul_f32_e32 v193, v58, v193                              // 000000005808: 0B83833A
	v_mul_f32_e32 v194, v58, v194                              // 00000000580C: 0B85853A
	v_mul_f32_e32 v195, v58, v195                              // 000000005810: 0B87873A
	v_rcp_f32_e32 v58, v62                                     // 000000005814: 7E74453E
	s_waitcnt lgkmcnt(0)                                       // 000000005818: BF8CC07F
	s_barrier                                                  // 00000000581C: BF8A0000
	ds_read_b64 v[128:129], v12 offset:25088                   // 000000005820: D8EC6200 8000000C
	ds_read_b64 v[130:131], v12 offset:25216                   // 000000005828: D8EC6280 8200000C
	ds_read_b64 v[132:133], v12 offset:26112                   // 000000005830: D8EC6600 8400000C
	ds_read_b64 v[134:135], v12 offset:26240                   // 000000005838: D8EC6680 8600000C
	v_add_f32_e32 v224, v224, v192                             // 000000005840: 03C181E0
	v_add_f32_e32 v225, v225, v193                             // 000000005844: 03C383E1
	v_add_f32_e32 v226, v226, v194                             // 000000005848: 03C585E2
	v_add_f32_e32 v227, v227, v195                             // 00000000584C: 03C787E3
	s_waitcnt lgkmcnt(3)                                       // 000000005850: BF8CC37F
	v_mov_b32_dpp v136, v128 row_shl:8 row_mask:0xf bank_mask:0xf bound_ctrl:1// 000000005854: 7F1002FA FF090880
	v_and_b32_e32 v128, v128, v9                               // 00000000585C: 27001380
	v_mov_b32_dpp v137, v129 row_shl:8 row_mask:0xf bank_mask:0xf bound_ctrl:1// 000000005860: 7F1202FA FF090881
	v_and_b32_e32 v129, v129, v9                               // 000000005868: 27021381
	s_waitcnt lgkmcnt(2)                                       // 00000000586C: BF8CC27F
	v_mov_b32_dpp v138, v130 row_shl:8 row_mask:0xf bank_mask:0xf bound_ctrl:1// 000000005870: 7F1402FA FF090882
	v_and_b32_e32 v130, v130, v9                               // 000000005878: 27041382
	v_mov_b32_dpp v139, v131 row_shl:8 row_mask:0xf bank_mask:0xf bound_ctrl:1// 00000000587C: 7F1602FA FF090883
	v_and_b32_e32 v131, v131, v9                               // 000000005884: 27061383
	s_waitcnt lgkmcnt(1)                                       // 000000005888: BF8CC17F
	v_mov_b32_dpp v140, v132 row_shl:8 row_mask:0xf bank_mask:0xf bound_ctrl:1// 00000000588C: 7F1802FA FF090884
	v_and_b32_e32 v132, v132, v9                               // 000000005894: 27081384
	v_mov_b32_dpp v141, v133 row_shl:8 row_mask:0xf bank_mask:0xf bound_ctrl:1// 000000005898: 7F1A02FA FF090885
	v_and_b32_e32 v133, v133, v9                               // 0000000058A0: 270A1385
	s_waitcnt lgkmcnt(0)                                       // 0000000058A4: BF8CC07F
	v_mov_b32_dpp v142, v134 row_shl:8 row_mask:0xf bank_mask:0xf bound_ctrl:1// 0000000058A8: 7F1C02FA FF090886
	v_and_b32_e32 v134, v134, v9                               // 0000000058B0: 270C1386
	v_mov_b32_dpp v143, v135 row_shl:8 row_mask:0xf bank_mask:0xf bound_ctrl:1// 0000000058B4: 7F1E02FA FF090887
	v_and_b32_e32 v135, v135, v9                               // 0000000058BC: 270E1387
	s_waitcnt vmcnt(0)                                         // 0000000058C0: BF8C0F70
	s_barrier                                                  // 0000000058C4: BF8A0000
	v_mfma_i32_16x16x32_i8 v[192:195], a[96:97], v[128:129], 0 // 0000000058C8: D3D700C0 0A030160
	v_mfma_i32_16x16x32_i8 v[192:195], a[98:99], v[130:131], v[192:195]// 0000000058D0: D3D700C0 0F030562
	v_mfma_i32_16x16x32_i8 v[192:195], a[100:101], v[132:133], v[192:195]// 0000000058D8: D3D700C0 0F030964
	v_mfma_i32_16x16x32_i8 v[192:195], a[102:103], v[134:135], v[192:195]// 0000000058E0: D3D700C0 0F030D66
	v_mfma_i32_16x16x32_i8 v[192:195], a[104:105], v[136:137], v[192:195]// 0000000058E8: D3D700C0 0F031168
	v_mfma_i32_16x16x32_i8 v[192:195], a[106:107], v[138:139], v[192:195]// 0000000058F0: D3D700C0 0F03156A
	v_mfma_i32_16x16x32_i8 v[192:195], a[108:109], v[140:141], v[192:195]// 0000000058F8: D3D700C0 0F03196C
	v_mfma_i32_16x16x32_i8 v[192:195], a[110:111], v[142:143], v[192:195]// 000000005900: D3D700C0 0F031D6E
	v_mfma_i32_16x16x32_i8 v[196:199], a[112:113], v[128:129], 0// 000000005908: D3D700C4 0A030170
	v_mfma_i32_16x16x32_i8 v[196:199], a[114:115], v[130:131], v[196:199]// 000000005910: D3D700C4 0F130572
	v_mfma_i32_16x16x32_i8 v[196:199], a[116:117], v[132:133], v[196:199]// 000000005918: D3D700C4 0F130974
	v_mfma_i32_16x16x32_i8 v[196:199], a[118:119], v[134:135], v[196:199]// 000000005920: D3D700C4 0F130D76
	v_mfma_i32_16x16x32_i8 v[196:199], a[120:121], v[136:137], v[196:199]// 000000005928: D3D700C4 0F131178
	v_mfma_i32_16x16x32_i8 v[196:199], a[122:123], v[138:139], v[196:199]// 000000005930: D3D700C4 0F13157A
	v_mfma_i32_16x16x32_i8 v[196:199], a[124:125], v[140:141], v[196:199]// 000000005938: D3D700C4 0F13197C
	v_mfma_i32_16x16x32_i8 v[196:199], a[126:127], v[142:143], v[196:199]// 000000005940: D3D700C4 0F131D7E
	s_nop 4                                                    // 000000005948: BF800004
	s_branch label_0DD4                                        // 00000000594C: BF820000

0000000000005950 <label_0DD4>:
	v_mul_f32_e32 v224, v63, v224                              // 000000005950: 0BC1C13F
	v_mul_f32_e32 v225, v63, v225                              // 000000005954: 0BC3C33F
	v_mul_f32_e32 v226, v63, v226                              // 000000005958: 0BC5C53F
	v_mul_f32_e32 v227, v63, v227                              // 00000000595C: 0BC7C73F
	v_or_b32_dpp v192, v196, v192 row_shr:8 row_mask:0xf bank_mask:0xf bound_ctrl:1// 000000005960: 298180FA FF0918C4
	v_or_b32_dpp v193, v197, v193 row_shr:8 row_mask:0xf bank_mask:0xf bound_ctrl:1// 000000005968: 298382FA FF0918C5
	v_or_b32_dpp v194, v198, v194 row_shr:8 row_mask:0xf bank_mask:0xf bound_ctrl:1// 000000005970: 298584FA FF0918C6
	v_or_b32_dpp v195, v199, v195 row_shr:8 row_mask:0xf bank_mask:0xf bound_ctrl:1// 000000005978: 298786FA FF0918C7
	v_cvt_f32_i32_e32 v192, v192                               // 000000005980: 7F800BC0
	v_cvt_f32_i32_e32 v193, v193                               // 000000005984: 7F820BC1
	v_cvt_f32_i32_e32 v194, v194                               // 000000005988: 7F840BC2
	v_cvt_f32_i32_e32 v195, v195                               // 00000000598C: 7F860BC3
	v_mul_f32_e32 v192, v58, v192                              // 000000005990: 0B81813A
	v_mul_f32_e32 v193, v58, v193                              // 000000005994: 0B83833A
	v_mul_f32_e32 v194, v58, v194                              // 000000005998: 0B85853A
	v_mul_f32_e32 v195, v58, v195                              // 00000000599C: 0B87873A
	v_add_f32_e32 v224, v224, v192                             // 0000000059A0: 03C181E0
	v_add_f32_e32 v225, v225, v193                             // 0000000059A4: 03C383E1
	v_add_f32_e32 v226, v226, v194                             // 0000000059A8: 03C585E2
	v_add_f32_e32 v227, v227, v195                             // 0000000059AC: 03C787E3
	ds_write_b32 v11, v47 offset:16896                         // 0000000059B0: D81A4200 00002F0B
	s_waitcnt lgkmcnt(0)                                       // 0000000059B8: BF8CC07F
	s_barrier                                                  // 0000000059BC: BF8A0000
	ds_read_b32 v80, v10 offset:16896                          // 0000000059C0: D86C4200 5000000A
	ds_read_b32 v81, v10 offset:16960                          // 0000000059C8: D86C4240 5100000A
	ds_read_b32 v82, v10 offset:17024                          // 0000000059D0: D86C4280 5200000A
	ds_read_b32 v83, v10 offset:17088                          // 0000000059D8: D86C42C0 5300000A
	ds_read_b32 v84, v10 offset:17152                          // 0000000059E0: D86C4300 5400000A
	ds_read_b32 v85, v10 offset:17216                          // 0000000059E8: D86C4340 5500000A
	ds_read_b32 v86, v10 offset:17280                          // 0000000059F0: D86C4380 5600000A
	ds_read_b32 v87, v10 offset:17344                          // 0000000059F8: D86C43C0 5700000A
	ds_read_b32 v88, v10 offset:17408                          // 000000005A00: D86C4400 5800000A
	ds_read_b32 v89, v10 offset:17472                          // 000000005A08: D86C4440 5900000A
	ds_read_b32 v90, v10 offset:17536                          // 000000005A10: D86C4480 5A00000A
	ds_read_b32 v91, v10 offset:17600                          // 000000005A18: D86C44C0 5B00000A
	ds_read_b32 v92, v10 offset:17664                          // 000000005A20: D86C4500 5C00000A
	ds_read_b32 v93, v10 offset:17728                          // 000000005A28: D86C4540 5D00000A
	ds_read_b32 v94, v10 offset:17792                          // 000000005A30: D86C4580 5E00000A
	ds_read_b32 v95, v10 offset:17856                          // 000000005A38: D86C45C0 5F00000A
	s_waitcnt lgkmcnt(0)                                       // 000000005A40: BF8CC07F
	v_mov_b32_e32 v47, 0                                       // 000000005A44: 7E5E0280
	v_add_f32_e32 v47, v80, v47                                // 000000005A48: 025E5F50
	v_add_f32_e32 v47, v81, v47                                // 000000005A4C: 025E5F51
	v_add_f32_e32 v47, v82, v47                                // 000000005A50: 025E5F52
	v_add_f32_e32 v47, v83, v47                                // 000000005A54: 025E5F53
	v_add_f32_e32 v47, v84, v47                                // 000000005A58: 025E5F54
	v_add_f32_e32 v47, v85, v47                                // 000000005A5C: 025E5F55
	v_add_f32_e32 v47, v86, v47                                // 000000005A60: 025E5F56
	v_add_f32_e32 v47, v87, v47                                // 000000005A64: 025E5F57
	v_add_f32_e32 v47, v88, v47                                // 000000005A68: 025E5F58
	v_add_f32_e32 v47, v89, v47                                // 000000005A6C: 025E5F59
	v_add_f32_e32 v47, v90, v47                                // 000000005A70: 025E5F5A
	v_add_f32_e32 v47, v91, v47                                // 000000005A74: 025E5F5B
	v_add_f32_e32 v47, v92, v47                                // 000000005A78: 025E5F5C
	v_add_f32_e32 v47, v93, v47                                // 000000005A7C: 025E5F5D
	v_add_f32_e32 v47, v94, v47                                // 000000005A80: 025E5F5E
	v_add_f32_e32 v47, v95, v47                                // 000000005A84: 025E5F5F
	s_nop 1                                                    // 000000005A88: BF800001
	v_mov_b32_dpp v41, v47 row_ror:8 row_mask:0xf bank_mask:0xf// 000000005A8C: 7E5202FA FF01282F
	v_add_f32_e32 v47, v47, v41                                // 000000005A94: 025E532F
	v_rcp_f32_e32 v47, v47                                     // 000000005A98: 7E5E452F
	s_nop 1                                                    // 000000005A9C: BF800001
	v_mul_f32_e32 v224, v47, v224                              // 000000005AA0: 0BC1C12F
	v_mul_f32_e32 v225, v47, v225                              // 000000005AA4: 0BC3C32F
	v_mul_f32_e32 v226, v47, v226                              // 000000005AA8: 0BC5C52F
	v_mul_f32_e32 v227, v47, v227                              // 000000005AAC: 0BC7C72F
	v_cmp_u_f32_e64 s[40:41], v224, v224                       // 000000005AB0: D0480028 0003C1E0
	v_add3_u32 v21, v224, v24, 1                               // 000000005AB8: D1FF0015 020631E0
	v_cndmask_b32_e64 v41, v21, v23, s[40:41]                  // 000000005AC0: D1000029 00A22F15
	v_cmp_u_f32_e64 s[40:41], v225, v225                       // 000000005AC8: D0480028 0003C3E1
	v_add3_u32 v21, v225, v24, 1                               // 000000005AD0: D1FF0015 020631E1
	v_cndmask_b32_e64 v42, v21, v23, s[40:41]                  // 000000005AD8: D100002A 00A22F15
	v_perm_b32 v224, v42, v41, s52                             // 000000005AE0: D1ED00E0 00D2532A
	v_cmp_u_f32_e64 s[40:41], v226, v226                       // 000000005AE8: D0480028 0003C5E2
	v_add3_u32 v21, v226, v24, 1                               // 000000005AF0: D1FF0015 020631E2
	v_cndmask_b32_e64 v41, v21, v23, s[40:41]                  // 000000005AF8: D1000029 00A22F15
	v_cmp_u_f32_e64 s[40:41], v227, v227                       // 000000005B00: D0480028 0003C7E3
	v_add3_u32 v21, v227, v24, 1                               // 000000005B08: D1FF0015 020631E3
	v_cndmask_b32_e64 v42, v21, v23, s[40:41]                  // 000000005B10: D100002A 00A22F15
	v_perm_b32 v225, v42, v41, s52                             // 000000005B18: D1ED00E1 00D2532A
	s_nop 1                                                    // 000000005B20: BF800001
	v_mov_b32_dpp v226, v224 row_shl:8 row_mask:0xf bank_mask:0xf bound_ctrl:1// 000000005B24: 7FC402FA FF0908E0
	v_and_b32_e32 v224, v224, v9                               // 000000005B2C: 27C013E0
	v_mov_b32_dpp v227, v225 row_shl:8 row_mask:0xf bank_mask:0xf bound_ctrl:1// 000000005B30: 7FC602FA FF0908E1
	v_and_b32_e32 v225, v225, v9                               // 000000005B38: 27C213E1
	v_lshrrev_b32_e32 v41, 4, v0                               // 000000005B3C: 20520084
	v_mul_i32_i24_e32 v5, 34, v41                              // 000000005B40: 0C0A52A2
	v_and_b32_e32 v41, 15, v0                                  // 000000005B44: 2652008F
	v_mul_i32_i24_e32 v42, 2, v41                              // 000000005B48: 0C545282
	v_add_u32_e32 v5, v42, v5                                  // 000000005B4C: 680A0B2A
	s_mul_i32 s60, s7, 0x88                                    // 000000005B50: 923CFF07 00000088
	v_add_u32_e32 v5, s60, v5                                  // 000000005B58: 680A0A3C
	v_lshlrev_b32_e32 v5, 2, v5                                // 000000005B5C: 240A0A82
	ds_write_b64 v5, v[224:225] offset:41472                   // 000000005B60: D89AA200 0000E005
	ds_write_b64 v5, v[226:227] offset:43648                   // 000000005B68: D89AAA80 0000E205
	v_lshrrev_b32_e32 v41, 1, v0                               // 000000005B70: 20520081
	v_mul_i32_i24_e32 v5, 34, v41                              // 000000005B74: 0C0A52A2
	v_and_b32_e32 v42, 1, v0                                   // 000000005B78: 26540081
	v_add_u32_e32 v5, v42, v5                                  // 000000005B7C: 680A0B2A
	s_mul_i32 s60, s7, 2                                       // 000000005B80: 923C8207
	v_add_u32_e32 v5, s60, v5                                  // 000000005B84: 680A0A3C
	v_lshlrev_b32_e32 v5, 2, v5                                // 000000005B88: 240A0A82
	s_waitcnt lgkmcnt(0)                                       // 000000005B8C: BF8CC07F
	s_barrier                                                  // 000000005B90: BF8A0000
	ds_read_b32 v224, v5 offset:41472                          // 000000005B94: D86CA200 E0000005
	ds_read_b32 v225, v5 offset:41504                          // 000000005B9C: D86CA220 E1000005
	s_waitcnt lgkmcnt(0)                                       // 000000005BA4: BF8CC07F
	buffer_store_dword v224, v8, s[8:11], 0 offen              // 000000005BA8: E0701000 8002E008
	buffer_store_dword v225, v8, s[8:11], 0 offen offset:1024  // 000000005BB0: E0701400 8002E108
	s_mul_i32 s60, 0x100, s77                                  // 000000005BB8: 923C4DFF 00000100
	s_add_u32 s8, s60, s8                                      // 000000005BC0: 8008083C
	s_addc_u32 s9, 0, s9                                       // 000000005BC4: 82090980
	s_branch label_4276                                        // 000000005BC8: BF823403

0000000000005bcc <label_0E73>:
	s_mul_i32 s60, s3, s65                                     // 000000005BCC: 923C4103
	s_mul_i32 s60, s60, 4                                      // 000000005BD0: 923C843C
	s_add_u32 s24, s60, s24                                    // 000000005BD4: 8018183C
	s_addc_u32 s25, 0, s25                                     // 000000005BD8: 82191980
	s_mov_b32 s56, 64                                          // 000000005BDC: BEB800C0
	s_add_u32 s73, s72, 15                                     // 000000005BE0: 80498F48
	s_lshr_b32 s73, s73, 4                                     // 000000005BE4: 8F498449
	s_mul_i32 s60, s73, 4                                      // 000000005BE8: 923C8449
	s_mov_b32 s26, s60                                         // 000000005BEC: BE9A003C
	v_and_b32_e32 v42, 3, v0                                   // 000000005BF0: 26540083
	v_cmp_eq_u32_e64 s[60:61], 0, v42                          // 000000005BF4: D0CA003C 00025480
	v_and_b32_e32 v41, 12, v0                                  // 000000005BFC: 2652008C
	v_add_u32_e32 v1, s7, v41                                  // 000000005C00: 68025207
	v_cndmask_b32_e64 v1, 0, v1, s[60:61]                      // 000000005C04: D1000001 00F20280
	v_and_b32_e32 v42, 3, v0                                   // 000000005C0C: 26540083
	v_cmp_eq_u32_e64 s[60:61], 1, v42                          // 000000005C10: D0CA003C 00025481
	v_lshrrev_b32_e32 v41, 4, v0                               // 000000005C18: 20520084
	v_and_b32_e32 v42, 12, v0                                  // 000000005C1C: 2654008C
	v_add_u32_e32 v41, v42, v41                                // 000000005C20: 6852532A
	v_cndmask_b32_e64 v41, 0, v41, s[60:61]                    // 000000005C24: D1000029 00F25280
	v_add_u32_e32 v1, v1, v41                                  // 000000005C2C: 68025301
	v_lshlrev_b32_e32 v1, 2, v1                                // 000000005C30: 24020282
	buffer_load_dword v19, v1, s[24:27], 0 offen               // 000000005C34: E0501000 80061301
	v_add_u32_e32 v1, s56, v1                                  // 000000005C3C: 68020238
	buffer_load_dword v20, v1, s[24:27], 0 offen               // 000000005C40: E0501000 80061401
	s_cmp_le_u32 s73, 32                                       // 000000005C48: BF0BA049
	s_cselect_b32 s56, 0, s56                                  // 000000005C4C: 85383880
	s_mul_i32 s60, s2, s67                                     // 000000005C50: 923C4302
	s_mul_i32 s61, s84, s74                                    // 000000005C54: 923D4A54
	s_add_u32 s60, s60, s61                                    // 000000005C58: 803C3D3C
	s_add_u32 s12, s60, s12                                    // 000000005C5C: 800C0C3C
	s_addc_u32 s13, 0, s13                                     // 000000005C60: 820D0D80
	s_mul_i32 s60, s7, 0x108                                   // 000000005C64: 923CFF07 00000108
	s_add_u32 m0, 0, s60                                       // 000000005C6C: 807C3C80
	s_mul_i32 s60, s7, 0x100                                   // 000000005C70: 923CFF07 00000100
	v_lshlrev_b32_e32 v41, 2, v0                               // 000000005C78: 24520082
	v_add_u32_e64 v41, v41, s60                                // 000000005C7C: D1340029 00007929
	v_add_u32_e32 v42, 0x400, v41                              // 000000005C84: 685452FF 00000400
	buffer_load_dword v41, s[12:15], 0 offen lds               // 000000005C8C: E0511000 80030029
	s_mul_i32 s60, 4, 0x108                                    // 000000005C94: 923CFF84 00000108
	s_add_u32 m0, m0, s60                                      // 000000005C9C: 807C3C7C
	buffer_load_dword v42, s[12:15], 0 offen lds               // 000000005CA0: E0511000 8003002A
	s_mul_i32 s60, 4, 0x108                                    // 000000005CA8: 923CFF84 00000108
	s_add_u32 m0, m0, s60                                      // 000000005CB0: 807C3C7C
	s_add_u32 s12, s74, s12                                    // 000000005CB4: 800C0C4A
	s_addc_u32 s13, 0, s13                                     // 000000005CB8: 820D0D80
	buffer_load_dword v41, s[12:15], 0 offen lds               // 000000005CBC: E0511000 80030029
	s_mul_i32 s60, 4, 0x108                                    // 000000005CC4: 923CFF84 00000108
	s_add_u32 m0, m0, s60                                      // 000000005CCC: 807C3C7C
	buffer_load_dword v42, s[12:15], 0 offen lds               // 000000005CD0: E0511000 8003002A
	s_mul_i32 s60, 4, 0x108                                    // 000000005CD8: 923CFF84 00000108
	s_add_u32 m0, m0, s60                                      // 000000005CE0: 807C3C7C
	v_lshrrev_b32_e32 v41, 4, v0                               // 000000005CE4: 20520084
	v_lshlrev_b32_e32 v41, 2, v41                              // 000000005CE8: 24525282
	v_and_b32_e32 v42, 3, v0                                   // 000000005CEC: 26540083
	v_add_u32_e32 v41, v42, v41                                // 000000005CF0: 6852532A
	v_lshlrev_b32_e32 v74, 2, v41                              // 000000005CF4: 24945282
	v_mov_b32_e32 v75, v74                                     // 000000005CF8: 7E96034A
	s_mul_i32 s60, s2, 64                                      // 000000005CFC: 923CC002
	s_add_u32 s32, s60, s32                                    // 000000005D00: 8020203C
	s_addc_u32 s33, 0, s33                                     // 000000005D04: 82212180
	s_add_u32 s36, s60, s36                                    // 000000005D08: 8024243C
	s_addc_u32 s37, 0, s37                                     // 000000005D0C: 82252580
	s_mul_i32 s60, s2, s76                                     // 000000005D10: 923C4C02
	s_mul_i32 s61, s84, s75                                    // 000000005D14: 923D4B54
	s_add_u32 s60, s60, s61                                    // 000000005D18: 803C3D3C
	s_add_u32 s8, s60, s8                                      // 000000005D1C: 8008083C
	s_addc_u32 s9, 0, s9                                       // 000000005D20: 82090980
	s_mov_b32 s70, 0                                           // 000000005D24: BEC60080
	s_and_b32 s71, s72, 0xffffff00                             // 000000005D28: 8647FF48 FFFFFF00
	s_mov_b32 s42, 0xff00ff00                                  // 000000005D30: BEAA00FF FF00FF00
	s_mov_b32 s43, 0xff00ff00                                  // 000000005D38: BEAB00FF FF00FF00
	s_mov_b32 s44, 0xf0f0f0f0                                  // 000000005D40: BEAC00FF F0F0F0F0
	s_mov_b32 s45, 0xf0f0f0f0                                  // 000000005D48: BEAD00FF F0F0F0F0
	s_mov_b32 s78, 0xff00ff                                    // 000000005D50: BECE00FF 00FF00FF
	s_mov_b32 s79, 0xff00ff                                    // 000000005D58: BECF00FF 00FF00FF
	v_mul_i32_i24_e64 v78, 64, s66                             // 000000005D60: D106004E 000084C0
	v_mov_b32_e32 v68, s68                                     // 000000005D68: 7E880244
	s_mov_b32 s52, 0x7060302                                   // 000000005D6C: BEB400FF 07060302
	s_mov_b32 s53, 0x400                                       // 000000005D74: BEB500FF 00000400
	s_mov_b32 s54, 0x40100                                     // 000000005D7C: BEB600FF 00040100
	s_mov_b32 s55, 0x4020100                                   // 000000005D84: BEB700FF 04020100
	s_mov_b32 s6, 0x3fb8aa3b                                   // 000000005D8C: BE8600FF 3FB8AA3B
	v_mov_b32_e32 v14, 0xff800000                              // 000000005D94: 7E1C02FF FF800000
	v_mov_b32_e32 v63, 0                                       // 000000005D9C: 7E7E0280
	v_mov_b32_e32 v47, 0                                       // 000000005DA0: 7E5E0280
	v_mov_b32_e32 v58, 0                                       // 000000005DA4: 7E740280
	v_mov_b32_e32 v22, 0xffff0000                              // 000000005DA8: 7E2C02FF FFFF0000
	v_mov_b32_e32 v23, 0x7fff0000                              // 000000005DB0: 7E2E02FF 7FFF0000
	v_mov_b32_e32 v24, 0x7fff                                  // 000000005DB8: 7E3002FF 00007FFF
	v_add_u32_e32 v1, s56, v1                                  // 000000005DC0: 68020238
	v_and_b32_e32 v10, 15, v0                                  // 000000005DC4: 2614008F
	v_lshlrev_b32_e32 v10, 2, v10                              // 000000005DC8: 24141482
	v_lshlrev_b32_e32 v11, 2, v0                               // 000000005DCC: 24160082
	s_mul_i32 s60, 0x100, s7                                   // 000000005DD0: 923C07FF 00000100
	v_add_u32_e32 v11, s60, v11                                // 000000005DD8: 6816163C
	v_lshrrev_b32_e32 v41, 4, v0                               // 000000005DDC: 20520084
	v_lshlrev_b32_e32 v42, 6, v41                              // 000000005DE0: 24545286
	v_and_b32_e32 v41, 15, v0                                  // 000000005DE4: 2652008F
	v_lshlrev_b32_e32 v41, 1, v41                              // 000000005DE8: 24525281
	v_add_u32_e32 v42, v41, v42                                // 000000005DEC: 68545529
	v_lshlrev_b32_e32 v12, 2, v42                              // 000000005DF0: 24185482
	v_lshrrev_b32_e32 v41, 5, v0                               // 000000005DF4: 20520085
	v_lshlrev_b32_e32 v42, 5, v41                              // 000000005DF8: 24545285
	v_and_b32_e32 v41, 31, v0                                  // 000000005DFC: 2652009F
	v_lshrrev_b32_e32 v43, 4, v41                              // 000000005E00: 20565284
	v_add_u32_e32 v42, v43, v42                                // 000000005E04: 6854552B
	v_and_b32_e32 v41, 15, v0                                  // 000000005E08: 2652008F
	v_lshlrev_b32_e32 v41, 1, v41                              // 000000005E0C: 24525281
	v_add_u32_e32 v42, v41, v42                                // 000000005E10: 68545529
	v_lshlrev_b32_e32 v41, 2, v42                              // 000000005E14: 24525482
	s_mul_i32 s60, 0x100, s7                                   // 000000005E18: 923C07FF 00000100
	v_add_u32_e64 v13, v41, s60                                // 000000005E20: D134000D 00007929
	v_lshlrev_b32_e32 v6, 4, v0                                // 000000005E28: 240C0084
	s_mul_i32 s60, s2, s69                                     // 000000005E2C: 923C4502
	s_add_u32 s16, s60, s16                                    // 000000005E30: 8010103C
	s_addc_u32 s17, 0, s17                                     // 000000005E34: 82111180
	v_and_b32_e32 v41, 15, v0                                  // 000000005E38: 2652008F
	v_lshlrev_b32_e32 v7, 4, v41                               // 000000005E3C: 240E5284
	s_mul_i32 s61, s2, s69                                     // 000000005E40: 923D4502
	s_mul_i32 s60, s7, 0x100                                   // 000000005E44: 923CFF07 00000100
	s_add_u32 s60, s60, s61                                    // 000000005E4C: 803C3D3C
	s_add_u32 s20, s60, s20                                    // 000000005E50: 8014143C
	s_addc_u32 s21, 0, s21                                     // 000000005E54: 82151580
	s_waitcnt vmcnt(4)                                         // 000000005E58: BF8C0F74
	v_mul_u32_u24_dpp v41, v19, v68 row_newbcast:0 row_mask:0xf bank_mask:0xf// 000000005E5C: 105288FA FF015013
	v_mul_u32_u24_dpp v42, v19, v68 row_newbcast:4 row_mask:0xf bank_mask:0xf// 000000005E64: 105488FA FF015413
	v_mul_u32_u24_dpp v43, v19, v68 row_newbcast:8 row_mask:0xf bank_mask:0xf// 000000005E6C: 105688FA FF015813
	v_mul_u32_u24_dpp v44, v19, v68 row_newbcast:12 row_mask:0xf bank_mask:0xf// 000000005E74: 105888FA FF015C13
	v_add_u32_e32 v25, v41, v6                                 // 000000005E7C: 68320D29
	v_add_u32_e32 v26, v42, v6                                 // 000000005E80: 68340D2A
	v_add_u32_e32 v27, v43, v6                                 // 000000005E84: 68360D2B
	v_add_u32_e32 v28, v44, v6                                 // 000000005E88: 68380D2C
	v_mul_u32_u24_dpp v41, v19, v68 row_newbcast:1 row_mask:0xf bank_mask:0xf// 000000005E8C: 105288FA FF015113
	v_mul_u32_u24_dpp v42, v19, v68 row_newbcast:5 row_mask:0xf bank_mask:0xf// 000000005E94: 105488FA FF015513
	v_mul_u32_u24_dpp v43, v19, v68 row_newbcast:9 row_mask:0xf bank_mask:0xf// 000000005E9C: 105688FA FF015913
	v_mul_u32_u24_dpp v44, v19, v68 row_newbcast:13 row_mask:0xf bank_mask:0xf// 000000005EA4: 105888FA FF015D13
	v_add_u32_e32 v33, v41, v7                                 // 000000005EAC: 68420F29
	v_add_u32_e32 v34, v42, v7                                 // 000000005EB0: 68440F2A
	v_add_u32_e32 v35, v43, v7                                 // 000000005EB4: 68460F2B
	v_add_u32_e32 v36, v44, v7                                 // 000000005EB8: 68480F2C
	v_mul_u32_u24_dpp v41, v19, v78 quad_perm:[0,0,0,0] row_mask:0xf bank_mask:0xf// 000000005EBC: 10529CFA FF000013
	v_add_u32_e32 v2, v41, v74                                 // 000000005EC4: 68049529
	v_mul_u32_u24_dpp v41, v19, v78 quad_perm:[0,0,0,0] row_mask:0xf bank_mask:0xf// 000000005EC8: 10529CFA FF000013
	v_add_u32_e32 v70, v41, v75                                // 000000005ED0: 688C9729
	buffer_load_dword v52, v2, s[32:35], 0 offen               // 000000005ED4: E0501000 80083402
	buffer_load_dwordx4 a[0:3], v25, s[16:19], 0 offen         // 000000005EDC: E05C1000 80840019
	buffer_load_dwordx4 a[4:7], v25, s[16:19], 0 offen offset:1024// 000000005EE4: E05C1400 80840419
	buffer_load_dwordx4 a[8:11], v26, s[16:19], 0 offen        // 000000005EEC: E05C1000 8084081A
	buffer_load_dwordx4 a[12:15], v26, s[16:19], 0 offen offset:1024// 000000005EF4: E05C1400 80840C1A
	buffer_load_dwordx4 a[16:19], v27, s[16:19], 0 offen       // 000000005EFC: E05C1000 8084101B
	buffer_load_dwordx4 a[20:23], v27, s[16:19], 0 offen offset:1024// 000000005F04: E05C1400 8084141B
	buffer_load_dwordx4 a[24:27], v28, s[16:19], 0 offen       // 000000005F0C: E05C1000 8084181C
	buffer_load_dwordx4 a[28:31], v28, s[16:19], 0 offen offset:1024// 000000005F14: E05C1400 80841C1C
	buffer_load_dword v72, v70, s[36:39], 0 offen              // 000000005F1C: E0501000 80094846
	buffer_load_dwordx4 a[64:67], v33, s[20:23], 0 offen       // 000000005F24: E05C1000 80854021
	buffer_load_dwordx4 a[68:71], v34, s[20:23], 0 offen       // 000000005F2C: E05C1000 80854422
	buffer_load_dwordx4 a[72:75], v35, s[20:23], 0 offen       // 000000005F34: E05C1000 80854823
	buffer_load_dwordx4 a[76:79], v36, s[20:23], 0 offen       // 000000005F3C: E05C1000 80854C24
	buffer_load_dwordx4 a[80:83], v33, s[20:23], 0 offen offset:1024// 000000005F44: E05C1400 80855021
	buffer_load_dwordx4 a[84:87], v34, s[20:23], 0 offen offset:1024// 000000005F4C: E05C1400 80855422
	buffer_load_dwordx4 a[88:91], v35, s[20:23], 0 offen offset:1024// 000000005F54: E05C1400 80855823
	buffer_load_dwordx4 a[92:95], v36, s[20:23], 0 offen offset:1024// 000000005F5C: E05C1400 80855C24
	v_lshrrev_b32_e32 v41, 4, v0                               // 000000005F64: 20520084
	v_lshlrev_b32_e32 v42, 1, v41                              // 000000005F68: 24545281
	v_and_b32_e32 v41, 15, v0                                  // 000000005F6C: 2652008F
	v_mul_i32_i24_e32 v41, 0x42, v41                           // 000000005F70: 0C5252FF 00000042
	v_add_u32_e32 v42, v41, v42                                // 000000005F78: 68545529
	v_lshlrev_b32_e32 v4, 2, v42                               // 000000005F7C: 24085482
	s_mul_i32 s60, s7, 32                                      // 000000005F80: 923CA007
	v_add_u32_e32 v4, s60, v4                                  // 000000005F84: 6808083C
	s_waitcnt vmcnt(16) lgkmcnt(0)                             // 000000005F88: BF8C4070
	s_barrier                                                  // 000000005F8C: BF8A0000
	ds_read_b64 v[96:97], v4                                   // 000000005F90: D8EC0000 60000004
	ds_read_b64 v[100:101], v4 offset:128                      // 000000005F98: D8EC0080 64000004
	s_waitcnt lgkmcnt(0)                                       // 000000005FA0: BF8CC07F
	v_and_b32_e32 v99, 0xffff0000, v97                         // 000000005FA4: 26C6C2FF FFFF0000
	v_lshlrev_b32_e32 v98, 16, v97                             // 000000005FAC: 24C4C290
	v_and_b32_e32 v97, 0xffff0000, v96                         // 000000005FB0: 26C2C0FF FFFF0000
	v_lshlrev_b32_e32 v96, 16, v96                             // 000000005FB8: 24C0C090
	v_and_b32_e32 v103, 0xffff0000, v101                       // 000000005FBC: 26CECAFF FFFF0000
	v_lshlrev_b32_e32 v102, 16, v101                           // 000000005FC4: 24CCCA90
	v_and_b32_e32 v101, 0xffff0000, v100                       // 000000005FC8: 26CAC8FF FFFF0000
	v_lshlrev_b32_e32 v100, 16, v100                           // 000000005FD0: 24C8C890
	v_mov_b32_e32 v62, 0x358637bd                              // 000000005FD4: 7E7C02FF 358637BD
	v_max3_f32 v62, |v96|, |v97|, v62                          // 000000005FDC: D1D3033E 04FAC360
	v_max3_f32 v62, |v98|, |v99|, v62                          // 000000005FE4: D1D3033E 04FAC762
	v_max3_f32 v62, |v100|, |v101|, v62                        // 000000005FEC: D1D3033E 04FACB64
	v_max3_f32 v62, |v102|, |v103|, v62                        // 000000005FF4: D1D3033E 04FACF66
	ds_write_b32 v11, v62 offset:16896                         // 000000005FFC: D81A4200 00003E0B
	s_waitcnt lgkmcnt(0)                                       // 000000006004: BF8CC07F
	s_barrier                                                  // 000000006008: BF8A0000
	ds_read_b32 v80, v10 offset:16896                          // 00000000600C: D86C4200 5000000A
	ds_read_b32 v81, v10 offset:16960                          // 000000006014: D86C4240 5100000A
	ds_read_b32 v82, v10 offset:17024                          // 00000000601C: D86C4280 5200000A
	ds_read_b32 v83, v10 offset:17088                          // 000000006024: D86C42C0 5300000A
	ds_read_b32 v84, v10 offset:17152                          // 00000000602C: D86C4300 5400000A
	ds_read_b32 v85, v10 offset:17216                          // 000000006034: D86C4340 5500000A
	ds_read_b32 v86, v10 offset:17280                          // 00000000603C: D86C4380 5600000A
	ds_read_b32 v87, v10 offset:17344                          // 000000006044: D86C43C0 5700000A
	ds_read_b32 v88, v10 offset:17408                          // 00000000604C: D86C4400 5800000A
	ds_read_b32 v89, v10 offset:17472                          // 000000006054: D86C4440 5900000A
	ds_read_b32 v90, v10 offset:17536                          // 00000000605C: D86C4480 5A00000A
	ds_read_b32 v91, v10 offset:17600                          // 000000006064: D86C44C0 5B00000A
	ds_read_b32 v92, v10 offset:17664                          // 00000000606C: D86C4500 5C00000A
	ds_read_b32 v93, v10 offset:17728                          // 000000006074: D86C4540 5D00000A
	ds_read_b32 v94, v10 offset:17792                          // 00000000607C: D86C4580 5E00000A
	ds_read_b32 v95, v10 offset:17856                          // 000000006084: D86C45C0 5F00000A
	s_waitcnt lgkmcnt(0)                                       // 00000000608C: BF8CC07F
	v_max3_f32 v62, |v80|, |v81|, v62                          // 000000006090: D1D3033E 04FAA350
	v_max3_f32 v62, |v82|, |v83|, v62                          // 000000006098: D1D3033E 04FAA752
	v_max3_f32 v62, |v84|, |v85|, v62                          // 0000000060A0: D1D3033E 04FAAB54
	v_max3_f32 v62, |v86|, |v87|, v62                          // 0000000060A8: D1D3033E 04FAAF56
	v_max3_f32 v62, |v88|, |v89|, v62                          // 0000000060B0: D1D3033E 04FAB358
	v_max3_f32 v62, |v90|, |v91|, v62                          // 0000000060B8: D1D3033E 04FAB75A
	v_max3_f32 v62, |v92|, |v93|, v62                          // 0000000060C0: D1D3033E 04FABB5C
	v_max3_f32 v62, |v94|, |v95|, v62                          // 0000000060C8: D1D3033E 04FABF5E
	v_rcp_f32_e32 v62, v62                                     // 0000000060D0: 7E7C453E
	s_nop 1                                                    // 0000000060D4: BF800001
	v_mul_f32_e32 v62, 0x42fe0000, v62                         // 0000000060D8: 0A7C7CFF 42FE0000
	v_mul_f32_e32 v96, v62, v96                                // 0000000060E0: 0AC0C13E
	v_mul_f32_e32 v97, v62, v97                                // 0000000060E4: 0AC2C33E
	v_mul_f32_e32 v98, v62, v98                                // 0000000060E8: 0AC4C53E
	v_mul_f32_e32 v99, v62, v99                                // 0000000060EC: 0AC6C73E
	v_mul_f32_e32 v100, v62, v100                              // 0000000060F0: 0AC8C93E
	v_mul_f32_e32 v101, v62, v101                              // 0000000060F4: 0ACACB3E
	v_mul_f32_e32 v102, v62, v102                              // 0000000060F8: 0ACCCD3E
	v_mul_f32_e32 v103, v62, v103                              // 0000000060FC: 0ACECF3E
	v_cvt_i32_f32_e32 v96, v96                                 // 000000006100: 7EC01160
	v_cvt_i32_f32_e32 v97, v97                                 // 000000006104: 7EC21161
	v_cvt_i32_f32_e32 v98, v98                                 // 000000006108: 7EC41162
	v_cvt_i32_f32_e32 v99, v99                                 // 00000000610C: 7EC61163
	v_cvt_i32_f32_e32 v100, v100                               // 000000006110: 7EC81164
	v_cvt_i32_f32_e32 v101, v101                               // 000000006114: 7ECA1165
	v_cvt_i32_f32_e32 v102, v102                               // 000000006118: 7ECC1166
	v_cvt_i32_f32_e32 v103, v103                               // 00000000611C: 7ECE1167
	v_rcp_f32_e32 v54, v62                                     // 000000006120: 7E6C453E
	v_perm_b32 v96, v97, v96, s53                              // 000000006124: D1ED0060 00D6C161
	v_perm_b32 v96, v98, v96, s54                              // 00000000612C: D1ED0060 00DAC162
	v_perm_b32 v96, v99, v96, s55                              // 000000006134: D1ED0060 00DEC163
	v_perm_b32 v97, v101, v100, s53                            // 00000000613C: D1ED0061 00D6C965
	v_perm_b32 v97, v102, v97, s54                             // 000000006144: D1ED0061 00DAC366
	v_perm_b32 v97, v103, v97, s55                             // 00000000614C: D1ED0061 00DEC367
	ds_write_b32 v13, v96 offset:25088                         // 000000006154: D81A6200 0000600D
	ds_write_b32 v13, v97 offset:26112                         // 00000000615C: D81A6600 0000610D
	s_waitcnt lgkmcnt(0)                                       // 000000006164: BF8CC07F
	s_barrier                                                  // 000000006168: BF8A0000
	ds_read_b64 v[96:97], v12 offset:25088                     // 00000000616C: D8EC6200 6000000C
	ds_read_b64 v[98:99], v12 offset:25216                     // 000000006174: D8EC6280 6200000C
	ds_read_b64 v[100:101], v12 offset:26112                   // 00000000617C: D8EC6600 6400000C
	ds_read_b64 v[102:103], v12 offset:26240                   // 000000006184: D8EC6680 6600000C
	v_mov_b32_e32 v224, 0                                      // 00000000618C: 7FC00280
	v_mov_b32_e32 v225, 0                                      // 000000006190: 7FC20280
	v_mov_b32_e32 v226, 0                                      // 000000006194: 7FC40280
	v_mov_b32_e32 v227, 0                                      // 000000006198: 7FC60280
	v_mov_b32_e32 v228, 0                                      // 00000000619C: 7FC80280
	v_mov_b32_e32 v229, 0                                      // 0000000061A0: 7FCA0280
	v_mov_b32_e32 v230, 0                                      // 0000000061A4: 7FCC0280
	v_mov_b32_e32 v231, 0                                      // 0000000061A8: 7FCE0280
	v_mov_b32_e32 v192, 0                                      // 0000000061AC: 7F800280
	v_mov_b32_e32 v193, 0                                      // 0000000061B0: 7F820280
	v_mov_b32_e32 v194, 0                                      // 0000000061B4: 7F840280
	v_mov_b32_e32 v195, 0                                      // 0000000061B8: 7F860280
	v_mov_b32_e32 v196, 0                                      // 0000000061BC: 7F880280
	v_mov_b32_e32 v197, 0                                      // 0000000061C0: 7F8A0280
	v_mov_b32_e32 v198, 0                                      // 0000000061C4: 7F8C0280
	v_mov_b32_e32 v199, 0                                      // 0000000061C8: 7F8E0280
	s_waitcnt vmcnt(8) lgkmcnt(0)                              // 0000000061CC: BF8C0078
	s_barrier                                                  // 0000000061D0: BF8A0000
	s_cmp_lt_u32 s73, 16                                       // 0000000061D4: BF0A9049
	s_cbranch_scc1 label_19F6                                  // 0000000061D8: BF8509FF
	s_cmp_lt_i32 s7, 2                                         // 0000000061DC: BF048207
	s_cbranch_scc0 label_14F9                                  // 0000000061E0: BF840500

00000000000061e4 <label_0FF9>:
	s_waitcnt vmcnt(8) lgkmcnt(0)                              // 0000000061E4: BF8C0078
	v_mul_u32_u24_dpp v41, v20, v68 row_newbcast:0 row_mask:0xf bank_mask:0xf// 0000000061E8: 105288FA FF015014
	v_mul_u32_u24_dpp v42, v20, v68 row_newbcast:4 row_mask:0xf bank_mask:0xf// 0000000061F0: 105488FA FF015414
	v_mul_u32_u24_dpp v43, v20, v68 row_newbcast:8 row_mask:0xf bank_mask:0xf// 0000000061F8: 105688FA FF015814
	v_mul_u32_u24_dpp v44, v20, v68 row_newbcast:12 row_mask:0xf bank_mask:0xf// 000000006200: 105888FA FF015C14
	v_add_u32_e32 v29, v41, v6                                 // 000000006208: 683A0D29
	v_add_u32_e32 v30, v42, v6                                 // 00000000620C: 683C0D2A
	v_add_u32_e32 v31, v43, v6                                 // 000000006210: 683E0D2B
	v_add_u32_e32 v32, v44, v6                                 // 000000006214: 68400D2C
	v_mul_u32_u24_dpp v41, v20, v78 quad_perm:[0,0,0,0] row_mask:0xf bank_mask:0xf// 000000006218: 10529CFA FF000014
	v_add_u32_e32 v3, v41, v74                                 // 000000006220: 68069529
	v_mul_u32_u24_dpp v41, v20, v78 quad_perm:[0,0,0,0] row_mask:0xf bank_mask:0xf// 000000006224: 10529CFA FF000014
	v_add_u32_e32 v71, v41, v75                                // 00000000622C: 688E9729
	v_mfma_i32_16x16x32_i8 v[128:131], a[0:1], v[96:97], 0     // 000000006230: D3D70080 0A02C100
	v_mfma_i32_16x16x32_i8 v[128:131], a[2:3], v[98:99], v[128:131]// 000000006238: D3D70080 0E02C502
	buffer_load_dwordx4 a[32:35], v29, s[16:19], 0 offen       // 000000006240: E05C1000 8084201D
	v_mfma_i32_16x16x32_i8 v[128:131], a[4:5], v[100:101], v[128:131]// 000000006248: D3D70080 0E02C904
	v_mfma_i32_16x16x32_i8 v[128:131], a[6:7], v[102:103], v[128:131]// 000000006250: D3D70080 0E02CD06
	buffer_load_dword v19, v1, s[24:27], 0 offen               // 000000006258: E0501000 80061301
	v_mfma_i32_16x16x32_i8 v[132:135], a[8:9], v[96:97], 0     // 000000006260: D3D70084 0A02C108
	v_mfma_i32_16x16x32_i8 v[132:135], a[10:11], v[98:99], v[132:135]// 000000006268: D3D70084 0E12C50A
	buffer_load_dwordx4 a[36:39], v29, s[16:19], 0 offen offset:1024// 000000006270: E05C1400 8084241D
	v_mfma_i32_16x16x32_i8 v[132:135], a[12:13], v[100:101], v[132:135]// 000000006278: D3D70084 0E12C90C
	v_mfma_i32_16x16x32_i8 v[132:135], a[14:15], v[102:103], v[132:135]// 000000006280: D3D70084 0E12CD0E
	v_mfma_i32_16x16x32_i8 v[136:139], a[16:17], v[96:97], 0   // 000000006288: D3D70088 0A02C110
	v_mfma_i32_16x16x32_i8 v[136:139], a[18:19], v[98:99], v[136:139]// 000000006290: D3D70088 0E22C512
	buffer_load_dwordx4 a[40:43], v30, s[16:19], 0 offen       // 000000006298: E05C1000 8084281E
	v_mfma_i32_16x16x32_i8 v[136:139], a[20:21], v[100:101], v[136:139]// 0000000062A0: D3D70088 0E22C914
	v_mfma_i32_16x16x32_i8 v[136:139], a[22:23], v[102:103], v[136:139]// 0000000062A8: D3D70088 0E22CD16
	v_mfma_i32_16x16x32_i8 v[140:143], a[24:25], v[96:97], 0   // 0000000062B0: D3D7008C 0A02C118
	v_mfma_i32_16x16x32_i8 v[140:143], a[26:27], v[98:99], v[140:143]// 0000000062B8: D3D7008C 0E32C51A
	buffer_load_dwordx4 a[44:47], v30, s[16:19], 0 offen offset:1024// 0000000062C0: E05C1400 80842C1E
	v_mfma_i32_16x16x32_i8 v[140:143], a[28:29], v[100:101], v[140:143]// 0000000062C8: D3D7008C 0E32C91C
	v_mfma_i32_16x16x32_i8 v[140:143], a[30:31], v[102:103], v[140:143]// 0000000062D0: D3D7008C 0E32CD1E
	buffer_load_dword v53, v3, s[32:35], 0 offen               // 0000000062D8: E0501000 80083503
	v_mov_b32_dpp v41, v52 row_shr:4 row_mask:0xf bank_mask:0xf// 0000000062E0: 7E5202FA FF011434
	v_mov_b32_dpp v42, v52 row_shl:4 row_mask:0xf bank_mask:0xf// 0000000062E8: 7E5402FA FF010434
	v_cndmask_b32_e64 v248, v52, v41, s[44:45]                 // 0000000062F0: D10000F8 00B25334
	v_cndmask_b32_e64 v249, v42, v52, s[44:45]                 // 0000000062F8: D10000F9 00B2692A
	v_mov_b32_dpp v41, v248 row_shr:8 row_mask:0xf bank_mask:0xf// 000000006300: 7E5202FA FF0118F8
	v_mov_b32_dpp v42, v248 row_shl:8 row_mask:0xf bank_mask:0xf// 000000006308: 7E5402FA FF0108F8
	v_mov_b32_dpp v43, v249 row_shr:8 row_mask:0xf bank_mask:0xf// 000000006310: 7E5602FA FF0118F9
	v_mov_b32_dpp v44, v249 row_shl:8 row_mask:0xf bank_mask:0xf// 000000006318: 7E5802FA FF0108F9
	v_mov_b32_e32 v45, v248                                    // 000000006320: 7E5A03F8
	v_mov_b32_e32 v46, v249                                    // 000000006324: 7E5C03F9
	v_cndmask_b32_e64 v248, v45, v41, s[42:43]                 // 000000006328: D10000F8 00AA532D
	v_cndmask_b32_e64 v250, v45, v42, s[78:79]                 // 000000006330: D10000FA 013A552D
	v_cndmask_b32_e64 v249, v46, v43, s[42:43]                 // 000000006338: D10000F9 00AA572E
	v_cndmask_b32_e64 v251, v46, v44, s[78:79]                 // 000000006340: D10000FB 013A592E
	v_mov_b32_dpp v41, v72 row_shr:4 row_mask:0xf bank_mask:0xf// 000000006348: 7E5202FA FF011448
	v_mov_b32_dpp v42, v72 row_shl:4 row_mask:0xf bank_mask:0xf// 000000006350: 7E5402FA FF010448
	v_cndmask_b32_e64 v252, v72, v41, s[44:45]                 // 000000006358: D10000FC 00B25348
	v_cndmask_b32_e64 v253, v42, v72, s[44:45]                 // 000000006360: D10000FD 00B2912A
	v_mov_b32_dpp v41, v252 row_shr:8 row_mask:0xf bank_mask:0xf// 000000006368: 7E5202FA FF0118FC
	v_mov_b32_dpp v42, v252 row_shl:8 row_mask:0xf bank_mask:0xf// 000000006370: 7E5402FA FF0108FC
	v_mov_b32_dpp v43, v253 row_shr:8 row_mask:0xf bank_mask:0xf// 000000006378: 7E5602FA FF0118FD
	v_mov_b32_dpp v44, v253 row_shl:8 row_mask:0xf bank_mask:0xf// 000000006380: 7E5802FA FF0108FD
	v_mov_b32_e32 v45, v252                                    // 000000006388: 7E5A03FC
	v_mov_b32_e32 v46, v253                                    // 00000000638C: 7E5C03FD
	v_cndmask_b32_e64 v252, v45, v41, s[42:43]                 // 000000006390: D10000FC 00AA532D
	v_cndmask_b32_e64 v254, v45, v42, s[78:79]                 // 000000006398: D10000FE 013A552D
	v_cndmask_b32_e64 v253, v46, v43, s[42:43]                 // 0000000063A0: D10000FD 00AA572E
	v_cndmask_b32_e64 v255, v46, v44, s[78:79]                 // 0000000063A8: D10000FF 013A592E
	buffer_load_dword v73, v71, s[36:39], 0 offen              // 0000000063B0: E0501000 80094947
	v_cvt_f32_i32_e32 v128, v128                               // 0000000063B8: 7F000B80
	v_cvt_f32_i32_e32 v129, v129                               // 0000000063BC: 7F020B81
	v_cvt_f32_i32_e32 v130, v130                               // 0000000063C0: 7F040B82
	v_cvt_f32_i32_e32 v131, v131                               // 0000000063C4: 7F060B83
	v_cvt_f32_i32_e32 v132, v132                               // 0000000063C8: 7F080B84
	v_cvt_f32_i32_e32 v133, v133                               // 0000000063CC: 7F0A0B85
	v_cvt_f32_i32_e32 v134, v134                               // 0000000063D0: 7F0C0B86
	v_cvt_f32_i32_e32 v135, v135                               // 0000000063D4: 7F0E0B87
	v_cvt_f32_i32_e32 v136, v136                               // 0000000063D8: 7F100B88
	v_cvt_f32_i32_e32 v137, v137                               // 0000000063DC: 7F120B89
	v_cvt_f32_i32_e32 v138, v138                               // 0000000063E0: 7F140B8A
	v_cvt_f32_i32_e32 v139, v139                               // 0000000063E4: 7F160B8B
	v_cvt_f32_i32_e32 v140, v140                               // 0000000063E8: 7F180B8C
	v_cvt_f32_i32_e32 v141, v141                               // 0000000063EC: 7F1A0B8D
	v_cvt_f32_i32_e32 v142, v142                               // 0000000063F0: 7F1C0B8E
	v_cvt_f32_i32_e32 v143, v143                               // 0000000063F4: 7F1E0B8F
	v_mul_f32_e32 v128, v54, v128                              // 0000000063F8: 0B010136
	v_mul_f32_e32 v129, v54, v129                              // 0000000063FC: 0B030336
	v_mul_f32_e32 v130, v54, v130                              // 000000006400: 0B050536
	v_mul_f32_e32 v131, v54, v131                              // 000000006404: 0B070736
	v_mul_f32_e32 v132, v54, v132                              // 000000006408: 0B090936
	v_mul_f32_e32 v133, v54, v133                              // 00000000640C: 0B0B0B36
	v_mul_f32_e32 v134, v54, v134                              // 000000006410: 0B0D0D36
	v_mul_f32_e32 v135, v54, v135                              // 000000006414: 0B0F0F36
	v_mul_f32_e32 v136, v54, v136                              // 000000006418: 0B111136
	v_mul_f32_e32 v137, v54, v137                              // 00000000641C: 0B131336
	v_mul_f32_e32 v138, v54, v138                              // 000000006420: 0B151536
	v_mul_f32_e32 v139, v54, v139                              // 000000006424: 0B171736
	v_mul_f32_e32 v140, v54, v140                              // 000000006428: 0B191936
	v_mul_f32_e32 v141, v54, v141                              // 00000000642C: 0B1B1B36
	v_mul_f32_e32 v142, v54, v142                              // 000000006430: 0B1D1D36
	v_mul_f32_e32 v143, v54, v143                              // 000000006434: 0B1F1F36
	buffer_load_dwordx4 a[48:51], v31, s[16:19], 0 offen       // 000000006438: E05C1000 8084301F
	v_mul_f32_dpp v128, v248, v128 quad_perm:[0,0,0,0] row_mask:0xf bank_mask:0xf// 000000006440: 0B0100FA FF0000F8
	v_mul_f32_dpp v129, v248, v129 quad_perm:[1,1,1,1] row_mask:0xf bank_mask:0xf// 000000006448: 0B0302FA FF0055F8
	v_mul_f32_dpp v130, v248, v130 quad_perm:[2,2,2,2] row_mask:0xf bank_mask:0xf// 000000006450: 0B0504FA FF00AAF8
	v_mul_f32_dpp v131, v248, v131 quad_perm:[3,3,3,3] row_mask:0xf bank_mask:0xf// 000000006458: 0B0706FA FF00FFF8
	v_mul_f32_dpp v132, v249, v132 quad_perm:[0,0,0,0] row_mask:0xf bank_mask:0xf// 000000006460: 0B0908FA FF0000F9
	v_mul_f32_dpp v133, v249, v133 quad_perm:[1,1,1,1] row_mask:0xf bank_mask:0xf// 000000006468: 0B0B0AFA FF0055F9
	v_mul_f32_dpp v134, v249, v134 quad_perm:[2,2,2,2] row_mask:0xf bank_mask:0xf// 000000006470: 0B0D0CFA FF00AAF9
	v_mul_f32_dpp v135, v249, v135 quad_perm:[3,3,3,3] row_mask:0xf bank_mask:0xf// 000000006478: 0B0F0EFA FF00FFF9
	v_mul_f32_dpp v136, v250, v136 quad_perm:[0,0,0,0] row_mask:0xf bank_mask:0xf// 000000006480: 0B1110FA FF0000FA
	v_mul_f32_dpp v137, v250, v137 quad_perm:[1,1,1,1] row_mask:0xf bank_mask:0xf// 000000006488: 0B1312FA FF0055FA
	v_mul_f32_dpp v138, v250, v138 quad_perm:[2,2,2,2] row_mask:0xf bank_mask:0xf// 000000006490: 0B1514FA FF00AAFA
	v_mul_f32_dpp v139, v250, v139 quad_perm:[3,3,3,3] row_mask:0xf bank_mask:0xf// 000000006498: 0B1716FA FF00FFFA
	v_mul_f32_dpp v140, v251, v140 quad_perm:[0,0,0,0] row_mask:0xf bank_mask:0xf// 0000000064A0: 0B1918FA FF0000FB
	v_mul_f32_dpp v141, v251, v141 quad_perm:[1,1,1,1] row_mask:0xf bank_mask:0xf// 0000000064A8: 0B1B1AFA FF0055FB
	v_mul_f32_dpp v142, v251, v142 quad_perm:[2,2,2,2] row_mask:0xf bank_mask:0xf// 0000000064B0: 0B1D1CFA FF00AAFB
	v_mul_f32_dpp v143, v251, v143 quad_perm:[3,3,3,3] row_mask:0xf bank_mask:0xf// 0000000064B8: 0B1F1EFA FF00FFFB
	buffer_load_dwordx4 a[52:55], v31, s[16:19], 0 offen offset:1024// 0000000064C0: E05C1400 8084341F
	v_mov_b32_e32 v62, v128                                    // 0000000064C8: 7E7C0380
	v_max3_f32 v62, v128, v129, v62                            // 0000000064CC: D1D3003E 04FB0380
	v_max3_f32 v62, v130, v131, v62                            // 0000000064D4: D1D3003E 04FB0782
	v_max3_f32 v62, v132, v133, v62                            // 0000000064DC: D1D3003E 04FB0B84
	v_max3_f32 v62, v134, v135, v62                            // 0000000064E4: D1D3003E 04FB0F86
	v_max3_f32 v62, v136, v137, v62                            // 0000000064EC: D1D3003E 04FB1388
	v_max3_f32 v62, v138, v139, v62                            // 0000000064F4: D1D3003E 04FB178A
	v_max3_f32 v62, v140, v141, v62                            // 0000000064FC: D1D3003E 04FB1B8C
	v_max3_f32 v62, v142, v143, v62                            // 000000006504: D1D3003E 04FB1F8E
	ds_write_b32 v11, v62 offset:16896                         // 00000000650C: D81A4200 00003E0B
	buffer_load_dwordx4 a[56:59], v32, s[16:19], 0 offen       // 000000006514: E05C1000 80843820
	v_mul_u32_u24_dpp v41, v20, v68 row_newbcast:1 row_mask:0xf bank_mask:0xf// 00000000651C: 105288FA FF015114
	v_mul_u32_u24_dpp v42, v20, v68 row_newbcast:5 row_mask:0xf bank_mask:0xf// 000000006524: 105488FA FF015514
	v_mul_u32_u24_dpp v43, v20, v68 row_newbcast:9 row_mask:0xf bank_mask:0xf// 00000000652C: 105688FA FF015914
	v_mul_u32_u24_dpp v44, v20, v68 row_newbcast:13 row_mask:0xf bank_mask:0xf// 000000006534: 105888FA FF015D14
	v_add_u32_e32 v37, v41, v7                                 // 00000000653C: 684A0F29
	v_add_u32_e32 v38, v42, v7                                 // 000000006540: 684C0F2A
	v_add_u32_e32 v39, v43, v7                                 // 000000006544: 684E0F2B
	v_add_u32_e32 v40, v44, v7                                 // 000000006548: 68500F2C
	v_mul_f32_e32 v224, v63, v224                              // 00000000654C: 0BC1C13F
	v_mul_f32_e32 v225, v63, v225                              // 000000006550: 0BC3C33F
	v_mul_f32_e32 v226, v63, v226                              // 000000006554: 0BC5C53F
	v_mul_f32_e32 v227, v63, v227                              // 000000006558: 0BC7C73F
	v_mul_f32_e32 v228, v63, v228                              // 00000000655C: 0BC9C93F
	v_mul_f32_e32 v229, v63, v229                              // 000000006560: 0BCBCB3F
	v_mul_f32_e32 v230, v63, v230                              // 000000006564: 0BCDCD3F
	v_mul_f32_e32 v231, v63, v231                              // 000000006568: 0BCFCF3F
	s_waitcnt lgkmcnt(0)                                       // 00000000656C: BF8CC07F
	s_barrier                                                  // 000000006570: BF8A0000
	ds_read_b32 v80, v10 offset:16896                          // 000000006574: D86C4200 5000000A
	ds_read_b32 v81, v10 offset:16960                          // 00000000657C: D86C4240 5100000A
	ds_read_b32 v82, v10 offset:17024                          // 000000006584: D86C4280 5200000A
	ds_read_b32 v83, v10 offset:17088                          // 00000000658C: D86C42C0 5300000A
	ds_read_b32 v84, v10 offset:17152                          // 000000006594: D86C4300 5400000A
	ds_read_b32 v85, v10 offset:17216                          // 00000000659C: D86C4340 5500000A
	ds_read_b32 v86, v10 offset:17280                          // 0000000065A4: D86C4380 5600000A
	ds_read_b32 v87, v10 offset:17344                          // 0000000065AC: D86C43C0 5700000A
	ds_read_b32 v88, v10 offset:17408                          // 0000000065B4: D86C4400 5800000A
	ds_read_b32 v89, v10 offset:17472                          // 0000000065BC: D86C4440 5900000A
	ds_read_b32 v90, v10 offset:17536                          // 0000000065C4: D86C4480 5A00000A
	ds_read_b32 v91, v10 offset:17600                          // 0000000065CC: D86C44C0 5B00000A
	ds_read_b32 v92, v10 offset:17664                          // 0000000065D4: D86C4500 5C00000A
	ds_read_b32 v93, v10 offset:17728                          // 0000000065DC: D86C4540 5D00000A
	ds_read_b32 v94, v10 offset:17792                          // 0000000065E4: D86C4580 5E00000A
	ds_read_b32 v95, v10 offset:17856                          // 0000000065EC: D86C45C0 5F00000A
	buffer_load_dwordx4 a[60:63], v32, s[16:19], 0 offen offset:1024// 0000000065F4: E05C1400 80843C20
	v_cvt_f32_i32_e32 v192, v192                               // 0000000065FC: 7F800BC0
	v_cvt_f32_i32_e32 v193, v193                               // 000000006600: 7F820BC1
	v_cvt_f32_i32_e32 v194, v194                               // 000000006604: 7F840BC2
	v_cvt_f32_i32_e32 v195, v195                               // 000000006608: 7F860BC3
	v_cvt_f32_i32_e32 v196, v196                               // 00000000660C: 7F880BC4
	v_cvt_f32_i32_e32 v197, v197                               // 000000006610: 7F8A0BC5
	v_cvt_f32_i32_e32 v198, v198                               // 000000006614: 7F8C0BC6
	v_cvt_f32_i32_e32 v199, v199                               // 000000006618: 7F8E0BC7
	v_mul_f32_e32 v192, v58, v192                              // 00000000661C: 0B81813A
	v_mul_f32_e32 v193, v58, v193                              // 000000006620: 0B83833A
	v_mul_f32_e32 v194, v58, v194                              // 000000006624: 0B85853A
	v_mul_f32_e32 v195, v58, v195                              // 000000006628: 0B87873A
	v_mul_f32_e32 v196, v58, v196                              // 00000000662C: 0B89893A
	v_mul_f32_e32 v197, v58, v197                              // 000000006630: 0B8B8B3A
	v_mul_f32_e32 v198, v58, v198                              // 000000006634: 0B8D8D3A
	v_mul_f32_e32 v199, v58, v199                              // 000000006638: 0B8F8F3A
	s_waitcnt lgkmcnt(0)                                       // 00000000663C: BF8CC07F
	v_max3_f32 v62, v80, v81, v62                              // 000000006640: D1D3003E 04FAA350
	v_max3_f32 v62, v82, v83, v62                              // 000000006648: D1D3003E 04FAA752
	v_max3_f32 v62, v84, v85, v62                              // 000000006650: D1D3003E 04FAAB54
	v_max3_f32 v62, v86, v87, v62                              // 000000006658: D1D3003E 04FAAF56
	v_max3_f32 v62, v88, v89, v62                              // 000000006660: D1D3003E 04FAB358
	v_max3_f32 v62, v90, v91, v62                              // 000000006668: D1D3003E 04FAB75A
	v_max3_f32 v62, v92, v93, v62                              // 000000006670: D1D3003E 04FABB5C
	v_max3_f32 v62, v94, v95, v62                              // 000000006678: D1D3003E 04FABF5E
	buffer_load_dwordx4 a[96:99], v37, s[20:23], 0 offen       // 000000006680: E05C1000 80856025
	v_mov_b32_e32 v41, 0xff800000                              // 000000006688: 7E5202FF FF800000
	v_cmp_eq_u32_e64 s[40:41], v41, v14                        // 000000006690: D0CA0028 00021D29
	s_nop 1                                                    // 000000006698: BF800001
	v_max_f32_e32 v18, v62, v14                                // 00000000669C: 16241D3E
	v_mul_f32_e32 v67, s64, v18                                // 0000000066A0: 0A862440
	v_fma_f32 v128, v128, s64, -v67                            // 0000000066A4: D1CB0080 850C8180
	v_fma_f32 v129, v129, s64, -v67                            // 0000000066AC: D1CB0081 850C8181
	v_fma_f32 v130, v130, s64, -v67                            // 0000000066B4: D1CB0082 850C8182
	v_fma_f32 v131, v131, s64, -v67                            // 0000000066BC: D1CB0083 850C8183
	v_fma_f32 v132, v132, s64, -v67                            // 0000000066C4: D1CB0084 850C8184
	v_fma_f32 v133, v133, s64, -v67                            // 0000000066CC: D1CB0085 850C8185
	v_fma_f32 v134, v134, s64, -v67                            // 0000000066D4: D1CB0086 850C8186
	v_fma_f32 v135, v135, s64, -v67                            // 0000000066DC: D1CB0087 850C8187
	v_fma_f32 v136, v136, s64, -v67                            // 0000000066E4: D1CB0088 850C8188
	v_fma_f32 v137, v137, s64, -v67                            // 0000000066EC: D1CB0089 850C8189
	v_fma_f32 v138, v138, s64, -v67                            // 0000000066F4: D1CB008A 850C818A
	v_fma_f32 v139, v139, s64, -v67                            // 0000000066FC: D1CB008B 850C818B
	v_fma_f32 v140, v140, s64, -v67                            // 000000006704: D1CB008C 850C818C
	v_fma_f32 v141, v141, s64, -v67                            // 00000000670C: D1CB008D 850C818D
	v_fma_f32 v142, v142, s64, -v67                            // 000000006714: D1CB008E 850C818E
	v_fma_f32 v143, v143, s64, -v67                            // 00000000671C: D1CB008F 850C818F
	buffer_load_dwordx4 a[100:103], v38, s[20:23], 0 offen     // 000000006724: E05C1000 80856426
	v_exp_f32_e32 v128, v128                                   // 00000000672C: 7F004180
	v_exp_f32_e32 v129, v129                                   // 000000006730: 7F024181
	v_exp_f32_e32 v130, v130                                   // 000000006734: 7F044182
	v_exp_f32_e32 v131, v131                                   // 000000006738: 7F064183
	v_exp_f32_e32 v132, v132                                   // 00000000673C: 7F084184
	v_exp_f32_e32 v133, v133                                   // 000000006740: 7F0A4185
	v_exp_f32_e32 v134, v134                                   // 000000006744: 7F0C4186
	v_exp_f32_e32 v135, v135                                   // 000000006748: 7F0E4187
	v_exp_f32_e32 v136, v136                                   // 00000000674C: 7F104188
	v_exp_f32_e32 v137, v137                                   // 000000006750: 7F124189
	v_exp_f32_e32 v138, v138                                   // 000000006754: 7F14418A
	v_exp_f32_e32 v139, v139                                   // 000000006758: 7F16418B
	v_exp_f32_e32 v140, v140                                   // 00000000675C: 7F18418C
	v_exp_f32_e32 v141, v141                                   // 000000006760: 7F1A418D
	v_exp_f32_e32 v142, v142                                   // 000000006764: 7F1C418E
	v_exp_f32_e32 v143, v143                                   // 000000006768: 7F1E418F
	buffer_load_dwordx4 a[104:107], v39, s[20:23], 0 offen     // 00000000676C: E05C1000 80856827
	v_mul_f32_dpp v240, v252, v128 quad_perm:[0,0,0,0] row_mask:0xf bank_mask:0xf// 000000006774: 0BE100FA FF0000FC
	v_mul_f32_dpp v241, v252, v129 quad_perm:[1,1,1,1] row_mask:0xf bank_mask:0xf// 00000000677C: 0BE302FA FF0055FC
	v_mul_f32_dpp v242, v252, v130 quad_perm:[2,2,2,2] row_mask:0xf bank_mask:0xf// 000000006784: 0BE504FA FF00AAFC
	v_mul_f32_dpp v243, v252, v131 quad_perm:[3,3,3,3] row_mask:0xf bank_mask:0xf// 00000000678C: 0BE706FA FF00FFFC
	v_mul_f32_dpp v244, v253, v132 quad_perm:[0,0,0,0] row_mask:0xf bank_mask:0xf// 000000006794: 0BE908FA FF0000FD
	v_mul_f32_dpp v245, v253, v133 quad_perm:[1,1,1,1] row_mask:0xf bank_mask:0xf// 00000000679C: 0BEB0AFA FF0055FD
	v_mul_f32_dpp v246, v253, v134 quad_perm:[2,2,2,2] row_mask:0xf bank_mask:0xf// 0000000067A4: 0BED0CFA FF00AAFD
	v_mul_f32_dpp v247, v253, v135 quad_perm:[3,3,3,3] row_mask:0xf bank_mask:0xf// 0000000067AC: 0BEF0EFA FF00FFFD
	v_mul_f32_dpp v248, v254, v136 quad_perm:[0,0,0,0] row_mask:0xf bank_mask:0xf// 0000000067B4: 0BF110FA FF0000FE
	v_mul_f32_dpp v249, v254, v137 quad_perm:[1,1,1,1] row_mask:0xf bank_mask:0xf// 0000000067BC: 0BF312FA FF0055FE
	v_mul_f32_dpp v250, v254, v138 quad_perm:[2,2,2,2] row_mask:0xf bank_mask:0xf// 0000000067C4: 0BF514FA FF00AAFE
	v_mul_f32_dpp v251, v254, v139 quad_perm:[3,3,3,3] row_mask:0xf bank_mask:0xf// 0000000067CC: 0BF716FA FF00FFFE
	v_mul_f32_dpp v252, v255, v140 quad_perm:[0,0,0,0] row_mask:0xf bank_mask:0xf// 0000000067D4: 0BF918FA FF0000FF
	v_mul_f32_dpp v253, v255, v141 quad_perm:[1,1,1,1] row_mask:0xf bank_mask:0xf// 0000000067DC: 0BFB1AFA FF0055FF
	v_mul_f32_dpp v254, v255, v142 quad_perm:[2,2,2,2] row_mask:0xf bank_mask:0xf// 0000000067E4: 0BFD1CFA FF00AAFF
	v_mul_f32_dpp v255, v255, v143 quad_perm:[3,3,3,3] row_mask:0xf bank_mask:0xf// 0000000067EC: 0BFF1EFA FF00FFFF
	v_mov_b32_e32 v62, 0x358637bd                              // 0000000067F4: 7E7C02FF 358637BD
	v_max3_f32 v62, |v240|, |v241|, v62                        // 0000000067FC: D1D3033E 04FBE3F0
	v_max3_f32 v62, |v242|, |v243|, v62                        // 000000006804: D1D3033E 04FBE7F2
	v_max3_f32 v62, |v244|, |v245|, v62                        // 00000000680C: D1D3033E 04FBEBF4
	v_max3_f32 v62, |v246|, |v247|, v62                        // 000000006814: D1D3033E 04FBEFF6
	v_max3_f32 v62, |v248|, |v249|, v62                        // 00000000681C: D1D3033E 04FBF3F8
	v_max3_f32 v62, |v250|, |v251|, v62                        // 000000006824: D1D3033E 04FBF7FA
	v_max3_f32 v62, |v252|, |v253|, v62                        // 00000000682C: D1D3033E 04FBFBFC
	v_max3_f32 v62, |v254|, |v255|, v62                        // 000000006834: D1D3033E 04FBFFFE
	buffer_load_dwordx4 a[108:111], v40, s[20:23], 0 offen     // 00000000683C: E05C1000 80856C28
	ds_write_b32 v11, v62 offset:20992                         // 000000006844: D81A5200 00003E0B
	v_sub_f32_e32 v63, v14, v18                                // 00000000684C: 047E250E
	v_cndmask_b32_e64 v63, v63, 0, s[40:41]                    // 000000006850: D100003F 00A1013F
	v_mov_b32_e32 v14, v18                                     // 000000006858: 7E1C0312
	v_mul_f32_e32 v63, s64, v63                                // 00000000685C: 0A7E7E40
	v_exp_f32_e32 v63, v63                                     // 000000006860: 7E7E413F
	s_waitcnt lgkmcnt(0)                                       // 000000006864: BF8CC07F
	s_barrier                                                  // 000000006868: BF8A0000
	ds_read_b32 v80, v10 offset:20992                          // 00000000686C: D86C5200 5000000A
	ds_read_b32 v81, v10 offset:21056                          // 000000006874: D86C5240 5100000A
	ds_read_b32 v82, v10 offset:21120                          // 00000000687C: D86C5280 5200000A
	ds_read_b32 v83, v10 offset:21184                          // 000000006884: D86C52C0 5300000A
	ds_read_b32 v84, v10 offset:21248                          // 00000000688C: D86C5300 5400000A
	ds_read_b32 v85, v10 offset:21312                          // 000000006894: D86C5340 5500000A
	ds_read_b32 v86, v10 offset:21376                          // 00000000689C: D86C5380 5600000A
	ds_read_b32 v87, v10 offset:21440                          // 0000000068A4: D86C53C0 5700000A
	ds_read_b32 v88, v10 offset:21504                          // 0000000068AC: D86C5400 5800000A
	ds_read_b32 v89, v10 offset:21568                          // 0000000068B4: D86C5440 5900000A
	ds_read_b32 v90, v10 offset:21632                          // 0000000068BC: D86C5480 5A00000A
	ds_read_b32 v91, v10 offset:21696                          // 0000000068C4: D86C54C0 5B00000A
	ds_read_b32 v92, v10 offset:21760                          // 0000000068CC: D86C5500 5C00000A
	ds_read_b32 v93, v10 offset:21824                          // 0000000068D4: D86C5540 5D00000A
	ds_read_b32 v94, v10 offset:21888                          // 0000000068DC: D86C5580 5E00000A
	ds_read_b32 v95, v10 offset:21952                          // 0000000068E4: D86C55C0 5F00000A
	v_mul_f32_e32 v47, v63, v47                                // 0000000068EC: 0A5E5F3F
	v_mov_b32_e32 v18, v128                                    // 0000000068F0: 7E240380
	v_add_f32_e32 v18, v129, v18                               // 0000000068F4: 02242581
	v_add_f32_e32 v18, v130, v18                               // 0000000068F8: 02242582
	v_add_f32_e32 v18, v131, v18                               // 0000000068FC: 02242583
	v_add_f32_e32 v18, v132, v18                               // 000000006900: 02242584
	v_add_f32_e32 v18, v133, v18                               // 000000006904: 02242585
	;; [unrolled: 1-line block ×3, first 2 shown]
	v_add_f32_e32 v18, v135, v18                               // 00000000690C: 02242587
	v_add_f32_e32 v18, v136, v18                               // 000000006910: 02242588
	v_add_f32_e32 v18, v137, v18                               // 000000006914: 02242589
	v_add_f32_e32 v18, v138, v18                               // 000000006918: 0224258A
	v_add_f32_e32 v18, v139, v18                               // 00000000691C: 0224258B
	v_add_f32_e32 v18, v140, v18                               // 000000006920: 0224258C
	v_add_f32_e32 v18, v141, v18                               // 000000006924: 0224258D
	v_add_f32_e32 v18, v142, v18                               // 000000006928: 0224258E
	v_add_f32_e32 v18, v143, v18                               // 00000000692C: 0224258F
	v_add_f32_e32 v47, v18, v47                                // 000000006930: 025E5F12
	s_waitcnt lgkmcnt(0)                                       // 000000006934: BF8CC07F
	v_max3_f32 v62, |v80|, |v81|, v62                          // 000000006938: D1D3033E 04FAA350
	v_max3_f32 v62, |v82|, |v83|, v62                          // 000000006940: D1D3033E 04FAA752
	v_max3_f32 v62, |v84|, |v85|, v62                          // 000000006948: D1D3033E 04FAAB54
	v_max3_f32 v62, |v86|, |v87|, v62                          // 000000006950: D1D3033E 04FAAF56
	v_max3_f32 v62, |v88|, |v89|, v62                          // 000000006958: D1D3033E 04FAB358
	v_max3_f32 v62, |v90|, |v91|, v62                          // 000000006960: D1D3033E 04FAB75A
	v_max3_f32 v62, |v92|, |v93|, v62                          // 000000006968: D1D3033E 04FABB5C
	v_max3_f32 v62, |v94|, |v95|, v62                          // 000000006970: D1D3033E 04FABF5E
	s_nop 2                                                    // 000000006978: BF800002
	v_rcp_f32_e32 v62, v62                                     // 00000000697C: 7E7C453E
	s_nop 1                                                    // 000000006980: BF800001
	v_mul_f32_e32 v62, 0x42fe0000, v62                         // 000000006984: 0A7C7CFF 42FE0000
	v_mul_f32_e32 v128, v62, v240                              // 00000000698C: 0B01E13E
	v_mul_f32_e32 v129, v62, v241                              // 000000006990: 0B03E33E
	v_mul_f32_e32 v130, v62, v242                              // 000000006994: 0B05E53E
	v_mul_f32_e32 v131, v62, v243                              // 000000006998: 0B07E73E
	v_mul_f32_e32 v132, v62, v244                              // 00000000699C: 0B09E93E
	v_mul_f32_e32 v133, v62, v245                              // 0000000069A0: 0B0BEB3E
	v_mul_f32_e32 v134, v62, v246                              // 0000000069A4: 0B0DED3E
	v_mul_f32_e32 v135, v62, v247                              // 0000000069A8: 0B0FEF3E
	v_mul_f32_e32 v136, v62, v248                              // 0000000069AC: 0B11F13E
	v_mul_f32_e32 v137, v62, v249                              // 0000000069B0: 0B13F33E
	v_mul_f32_e32 v138, v62, v250                              // 0000000069B4: 0B15F53E
	v_mul_f32_e32 v139, v62, v251                              // 0000000069B8: 0B17F73E
	v_mul_f32_e32 v140, v62, v252                              // 0000000069BC: 0B19F93E
	v_mul_f32_e32 v141, v62, v253                              // 0000000069C0: 0B1BFB3E
	v_mul_f32_e32 v142, v62, v254                              // 0000000069C4: 0B1DFD3E
	v_mul_f32_e32 v143, v62, v255                              // 0000000069C8: 0B1FFF3E
	v_cvt_i32_f32_e32 v128, v128                               // 0000000069CC: 7F001180
	v_cvt_i32_f32_e32 v129, v129                               // 0000000069D0: 7F021181
	v_cvt_i32_f32_e32 v130, v130                               // 0000000069D4: 7F041182
	v_cvt_i32_f32_e32 v131, v131                               // 0000000069D8: 7F061183
	v_cvt_i32_f32_e32 v132, v132                               // 0000000069DC: 7F081184
	v_cvt_i32_f32_e32 v133, v133                               // 0000000069E0: 7F0A1185
	v_cvt_i32_f32_e32 v134, v134                               // 0000000069E4: 7F0C1186
	v_cvt_i32_f32_e32 v135, v135                               // 0000000069E8: 7F0E1187
	v_cvt_i32_f32_e32 v136, v136                               // 0000000069EC: 7F101188
	v_cvt_i32_f32_e32 v137, v137                               // 0000000069F0: 7F121189
	v_cvt_i32_f32_e32 v138, v138                               // 0000000069F4: 7F14118A
	v_cvt_i32_f32_e32 v139, v139                               // 0000000069F8: 7F16118B
	v_cvt_i32_f32_e32 v140, v140                               // 0000000069FC: 7F18118C
	v_cvt_i32_f32_e32 v141, v141                               // 000000006A00: 7F1A118D
	v_cvt_i32_f32_e32 v142, v142                               // 000000006A04: 7F1C118E
	v_cvt_i32_f32_e32 v143, v143                               // 000000006A08: 7F1E118F
	v_perm_b32 v128, v129, v128, s53                           // 000000006A0C: D1ED0080 00D70181
	v_perm_b32 v128, v130, v128, s54                           // 000000006A14: D1ED0080 00DB0182
	v_perm_b32 v128, v131, v128, s55                           // 000000006A1C: D1ED0080 00DF0183
	v_perm_b32 v129, v133, v132, s53                           // 000000006A24: D1ED0081 00D70985
	v_perm_b32 v129, v134, v129, s54                           // 000000006A2C: D1ED0081 00DB0386
	v_perm_b32 v129, v135, v129, s55                           // 000000006A34: D1ED0081 00DF0387
	v_perm_b32 v130, v137, v136, s53                           // 000000006A3C: D1ED0082 00D71189
	v_perm_b32 v130, v138, v130, s54                           // 000000006A44: D1ED0082 00DB058A
	v_perm_b32 v130, v139, v130, s55                           // 000000006A4C: D1ED0082 00DF058B
	v_perm_b32 v131, v141, v140, s53                           // 000000006A54: D1ED0083 00D7198D
	v_perm_b32 v131, v142, v131, s54                           // 000000006A5C: D1ED0083 00DB078E
	v_perm_b32 v131, v143, v131, s55                           // 000000006A64: D1ED0083 00DF078F
	ds_write_b32 v13, v128 offset:25088                        // 000000006A6C: D81A6200 0000800D
	ds_write_b32 v13, v129 offset:26112                        // 000000006A74: D81A6600 0000810D
	ds_write_b32 v13, v130 offset:27136                        // 000000006A7C: D81A6A00 0000820D
	ds_write_b32 v13, v131 offset:28160                        // 000000006A84: D81A6E00 0000830D
	v_add_f32_e32 v224, v224, v192                             // 000000006A8C: 03C181E0
	v_add_f32_e32 v225, v225, v193                             // 000000006A90: 03C383E1
	v_add_f32_e32 v226, v226, v194                             // 000000006A94: 03C585E2
	v_add_f32_e32 v227, v227, v195                             // 000000006A98: 03C787E3
	v_add_f32_e32 v228, v228, v196                             // 000000006A9C: 03C989E4
	v_add_f32_e32 v229, v229, v197                             // 000000006AA0: 03CB8BE5
	v_add_f32_e32 v230, v230, v198                             // 000000006AA4: 03CD8DE6
	v_add_f32_e32 v231, v231, v199                             // 000000006AA8: 03CF8FE7
	v_rcp_f32_e32 v58, v62                                     // 000000006AAC: 7E74453E
	s_waitcnt lgkmcnt(0)                                       // 000000006AB0: BF8CC07F
	s_barrier                                                  // 000000006AB4: BF8A0000
	ds_read_b64 v[128:129], v12 offset:25088                   // 000000006AB8: D8EC6200 8000000C
	ds_read_b64 v[130:131], v12 offset:25216                   // 000000006AC0: D8EC6280 8200000C
	ds_read_b64 v[132:133], v12 offset:26112                   // 000000006AC8: D8EC6600 8400000C
	ds_read_b64 v[134:135], v12 offset:26240                   // 000000006AD0: D8EC6680 8600000C
	ds_read_b64 v[136:137], v12 offset:27136                   // 000000006AD8: D8EC6A00 8800000C
	ds_read_b64 v[138:139], v12 offset:27264                   // 000000006AE0: D8EC6A80 8A00000C
	ds_read_b64 v[140:141], v12 offset:28160                   // 000000006AE8: D8EC6E00 8C00000C
	ds_read_b64 v[142:143], v12 offset:28288                   // 000000006AF0: D8EC6E80 8E00000C
	s_waitcnt vmcnt(15)                                        // 000000006AF8: BF8C0F7F
	s_waitcnt lgkmcnt(7)                                       // 000000006AFC: BF8CC77F
	v_mfma_i32_16x16x32_i8 v[192:195], a[64:65], v[128:129], 0 // 000000006B00: D3D700C0 0A030140
	s_waitcnt lgkmcnt(6)                                       // 000000006B08: BF8CC67F
	v_mfma_i32_16x16x32_i8 v[192:195], a[66:67], v[130:131], v[192:195]// 000000006B0C: D3D700C0 0F030542
	buffer_load_dwordx4 a[112:115], v37, s[20:23], 0 offen offset:1024// 000000006B14: E05C1400 80857025
	s_waitcnt lgkmcnt(5)                                       // 000000006B1C: BF8CC57F
	v_mfma_i32_16x16x32_i8 v[192:195], a[68:69], v[132:133], v[192:195]// 000000006B20: D3D700C0 0F030944
	s_waitcnt lgkmcnt(4)                                       // 000000006B28: BF8CC47F
	v_mfma_i32_16x16x32_i8 v[192:195], a[70:71], v[134:135], v[192:195]// 000000006B2C: D3D700C0 0F030D46
	s_waitcnt lgkmcnt(3)                                       // 000000006B34: BF8CC37F
	v_mfma_i32_16x16x32_i8 v[192:195], a[72:73], v[136:137], v[192:195]// 000000006B38: D3D700C0 0F031148
	s_waitcnt lgkmcnt(2)                                       // 000000006B40: BF8CC27F
	v_mfma_i32_16x16x32_i8 v[192:195], a[74:75], v[138:139], v[192:195]// 000000006B44: D3D700C0 0F03154A
	buffer_load_dwordx4 a[116:119], v38, s[20:23], 0 offen offset:1024// 000000006B4C: E05C1400 80857426
	s_waitcnt lgkmcnt(1)                                       // 000000006B54: BF8CC17F
	v_mfma_i32_16x16x32_i8 v[192:195], a[76:77], v[140:141], v[192:195]// 000000006B58: D3D700C0 0F03194C
	s_waitcnt lgkmcnt(0)                                       // 000000006B60: BF8CC07F
	v_mfma_i32_16x16x32_i8 v[192:195], a[78:79], v[142:143], v[192:195]// 000000006B64: D3D700C0 0F031D4E
	v_mfma_i32_16x16x32_i8 v[196:199], a[80:81], v[128:129], 0 // 000000006B6C: D3D700C4 0A030150
	v_mfma_i32_16x16x32_i8 v[196:199], a[82:83], v[130:131], v[196:199]// 000000006B74: D3D700C4 0F130552
	buffer_load_dwordx4 a[120:123], v39, s[20:23], 0 offen offset:1024// 000000006B7C: E05C1400 80857827
	v_mfma_i32_16x16x32_i8 v[196:199], a[84:85], v[132:133], v[196:199]// 000000006B84: D3D700C4 0F130954
	v_mfma_i32_16x16x32_i8 v[196:199], a[86:87], v[134:135], v[196:199]// 000000006B8C: D3D700C4 0F130D56
	v_mfma_i32_16x16x32_i8 v[196:199], a[88:89], v[136:137], v[196:199]// 000000006B94: D3D700C4 0F131158
	v_mfma_i32_16x16x32_i8 v[196:199], a[90:91], v[138:139], v[196:199]// 000000006B9C: D3D700C4 0F13155A
	buffer_load_dwordx4 a[124:127], v40, s[20:23], 0 offen offset:1024// 000000006BA4: E05C1400 80857C28
	v_mfma_i32_16x16x32_i8 v[196:199], a[92:93], v[140:141], v[196:199]// 000000006BAC: D3D700C4 0F13195C
	s_lshr_b32 s57, s70, 4                                     // 000000006BB4: 8F398446
	s_add_u32 s57, 48, s57                                     // 000000006BB8: 803939B0
	v_mfma_i32_16x16x32_i8 v[196:199], a[94:95], v[142:143], v[196:199]// 000000006BBC: D3D700C4 0F131D5E
	s_cmp_ge_u32 s57, s73                                      // 000000006BC4: BF094939
	s_cselect_b32 s56, 0, s56                                  // 000000006BC8: 85383880
	v_add_u32_e32 v1, s56, v1                                  // 000000006BCC: 68020238
	s_addk_i32 s70, 0x100                                      // 000000006BD0: B7460100
	s_cmp_lt_i32 s70, s71                                      // 000000006BD4: BF044746
	s_cbranch_scc0 label_14F6                                  // 000000006BD8: BF84027F
	s_waitcnt vmcnt(8) lgkmcnt(0)                              // 000000006BDC: BF8C0078
	v_mul_u32_u24_dpp v41, v19, v68 row_newbcast:0 row_mask:0xf bank_mask:0xf// 000000006BE0: 105288FA FF015013
	v_mul_u32_u24_dpp v42, v19, v68 row_newbcast:4 row_mask:0xf bank_mask:0xf// 000000006BE8: 105488FA FF015413
	v_mul_u32_u24_dpp v43, v19, v68 row_newbcast:8 row_mask:0xf bank_mask:0xf// 000000006BF0: 105688FA FF015813
	v_mul_u32_u24_dpp v44, v19, v68 row_newbcast:12 row_mask:0xf bank_mask:0xf// 000000006BF8: 105888FA FF015C13
	v_add_u32_e32 v25, v41, v6                                 // 000000006C00: 68320D29
	v_add_u32_e32 v26, v42, v6                                 // 000000006C04: 68340D2A
	v_add_u32_e32 v27, v43, v6                                 // 000000006C08: 68360D2B
	v_add_u32_e32 v28, v44, v6                                 // 000000006C0C: 68380D2C
	v_mul_u32_u24_dpp v41, v19, v78 quad_perm:[0,0,0,0] row_mask:0xf bank_mask:0xf// 000000006C10: 10529CFA FF000013
	v_add_u32_e32 v2, v41, v74                                 // 000000006C18: 68049529
	v_mul_u32_u24_dpp v41, v19, v78 quad_perm:[0,0,0,0] row_mask:0xf bank_mask:0xf// 000000006C1C: 10529CFA FF000013
	v_add_u32_e32 v70, v41, v75                                // 000000006C24: 688C9729
	v_mfma_i32_16x16x32_i8 v[128:131], a[32:33], v[96:97], 0   // 000000006C28: D3D70080 0A02C120
	v_mfma_i32_16x16x32_i8 v[128:131], a[34:35], v[98:99], v[128:131]// 000000006C30: D3D70080 0E02C522
	buffer_load_dwordx4 a[0:3], v25, s[16:19], 0 offen         // 000000006C38: E05C1000 80840019
	v_mfma_i32_16x16x32_i8 v[128:131], a[36:37], v[100:101], v[128:131]// 000000006C40: D3D70080 0E02C924
	v_mfma_i32_16x16x32_i8 v[128:131], a[38:39], v[102:103], v[128:131]// 000000006C48: D3D70080 0E02CD26
	buffer_load_dword v20, v1, s[24:27], 0 offen               // 000000006C50: E0501000 80061401
	v_mfma_i32_16x16x32_i8 v[132:135], a[40:41], v[96:97], 0   // 000000006C58: D3D70084 0A02C128
	v_mfma_i32_16x16x32_i8 v[132:135], a[42:43], v[98:99], v[132:135]// 000000006C60: D3D70084 0E12C52A
	buffer_load_dwordx4 a[4:7], v25, s[16:19], 0 offen offset:1024// 000000006C68: E05C1400 80840419
	v_mfma_i32_16x16x32_i8 v[132:135], a[44:45], v[100:101], v[132:135]// 000000006C70: D3D70084 0E12C92C
	v_mfma_i32_16x16x32_i8 v[132:135], a[46:47], v[102:103], v[132:135]// 000000006C78: D3D70084 0E12CD2E
	v_mfma_i32_16x16x32_i8 v[136:139], a[48:49], v[96:97], 0   // 000000006C80: D3D70088 0A02C130
	v_mfma_i32_16x16x32_i8 v[136:139], a[50:51], v[98:99], v[136:139]// 000000006C88: D3D70088 0E22C532
	buffer_load_dwordx4 a[8:11], v26, s[16:19], 0 offen        // 000000006C90: E05C1000 8084081A
	v_mfma_i32_16x16x32_i8 v[136:139], a[52:53], v[100:101], v[136:139]// 000000006C98: D3D70088 0E22C934
	v_mfma_i32_16x16x32_i8 v[136:139], a[54:55], v[102:103], v[136:139]// 000000006CA0: D3D70088 0E22CD36
	v_mfma_i32_16x16x32_i8 v[140:143], a[56:57], v[96:97], 0   // 000000006CA8: D3D7008C 0A02C138
	v_mfma_i32_16x16x32_i8 v[140:143], a[58:59], v[98:99], v[140:143]// 000000006CB0: D3D7008C 0E32C53A
	buffer_load_dwordx4 a[12:15], v26, s[16:19], 0 offen offset:1024// 000000006CB8: E05C1400 80840C1A
	v_mfma_i32_16x16x32_i8 v[140:143], a[60:61], v[100:101], v[140:143]// 000000006CC0: D3D7008C 0E32C93C
	v_mfma_i32_16x16x32_i8 v[140:143], a[62:63], v[102:103], v[140:143]// 000000006CC8: D3D7008C 0E32CD3E
	buffer_load_dword v52, v2, s[32:35], 0 offen               // 000000006CD0: E0501000 80083402
	v_mov_b32_dpp v41, v53 row_shr:4 row_mask:0xf bank_mask:0xf// 000000006CD8: 7E5202FA FF011435
	v_mov_b32_dpp v42, v53 row_shl:4 row_mask:0xf bank_mask:0xf// 000000006CE0: 7E5402FA FF010435
	v_cndmask_b32_e64 v248, v53, v41, s[44:45]                 // 000000006CE8: D10000F8 00B25335
	v_cndmask_b32_e64 v249, v42, v53, s[44:45]                 // 000000006CF0: D10000F9 00B26B2A
	v_mov_b32_dpp v41, v248 row_shr:8 row_mask:0xf bank_mask:0xf// 000000006CF8: 7E5202FA FF0118F8
	v_mov_b32_dpp v42, v248 row_shl:8 row_mask:0xf bank_mask:0xf// 000000006D00: 7E5402FA FF0108F8
	v_mov_b32_dpp v43, v249 row_shr:8 row_mask:0xf bank_mask:0xf// 000000006D08: 7E5602FA FF0118F9
	v_mov_b32_dpp v44, v249 row_shl:8 row_mask:0xf bank_mask:0xf// 000000006D10: 7E5802FA FF0108F9
	v_mov_b32_e32 v45, v248                                    // 000000006D18: 7E5A03F8
	v_mov_b32_e32 v46, v249                                    // 000000006D1C: 7E5C03F9
	v_cndmask_b32_e64 v248, v45, v41, s[42:43]                 // 000000006D20: D10000F8 00AA532D
	v_cndmask_b32_e64 v250, v45, v42, s[78:79]                 // 000000006D28: D10000FA 013A552D
	v_cndmask_b32_e64 v249, v46, v43, s[42:43]                 // 000000006D30: D10000F9 00AA572E
	v_cndmask_b32_e64 v251, v46, v44, s[78:79]                 // 000000006D38: D10000FB 013A592E
	v_mov_b32_dpp v41, v73 row_shr:4 row_mask:0xf bank_mask:0xf// 000000006D40: 7E5202FA FF011449
	v_mov_b32_dpp v42, v73 row_shl:4 row_mask:0xf bank_mask:0xf// 000000006D48: 7E5402FA FF010449
	v_cndmask_b32_e64 v252, v73, v41, s[44:45]                 // 000000006D50: D10000FC 00B25349
	v_cndmask_b32_e64 v253, v42, v73, s[44:45]                 // 000000006D58: D10000FD 00B2932A
	v_mov_b32_dpp v41, v252 row_shr:8 row_mask:0xf bank_mask:0xf// 000000006D60: 7E5202FA FF0118FC
	v_mov_b32_dpp v42, v252 row_shl:8 row_mask:0xf bank_mask:0xf// 000000006D68: 7E5402FA FF0108FC
	v_mov_b32_dpp v43, v253 row_shr:8 row_mask:0xf bank_mask:0xf// 000000006D70: 7E5602FA FF0118FD
	v_mov_b32_dpp v44, v253 row_shl:8 row_mask:0xf bank_mask:0xf// 000000006D78: 7E5802FA FF0108FD
	v_mov_b32_e32 v45, v252                                    // 000000006D80: 7E5A03FC
	v_mov_b32_e32 v46, v253                                    // 000000006D84: 7E5C03FD
	v_cndmask_b32_e64 v252, v45, v41, s[42:43]                 // 000000006D88: D10000FC 00AA532D
	v_cndmask_b32_e64 v254, v45, v42, s[78:79]                 // 000000006D90: D10000FE 013A552D
	v_cndmask_b32_e64 v253, v46, v43, s[42:43]                 // 000000006D98: D10000FD 00AA572E
	v_cndmask_b32_e64 v255, v46, v44, s[78:79]                 // 000000006DA0: D10000FF 013A592E
	buffer_load_dword v72, v70, s[36:39], 0 offen              // 000000006DA8: E0501000 80094846
	v_cvt_f32_i32_e32 v128, v128                               // 000000006DB0: 7F000B80
	v_cvt_f32_i32_e32 v129, v129                               // 000000006DB4: 7F020B81
	v_cvt_f32_i32_e32 v130, v130                               // 000000006DB8: 7F040B82
	v_cvt_f32_i32_e32 v131, v131                               // 000000006DBC: 7F060B83
	v_cvt_f32_i32_e32 v132, v132                               // 000000006DC0: 7F080B84
	v_cvt_f32_i32_e32 v133, v133                               // 000000006DC4: 7F0A0B85
	v_cvt_f32_i32_e32 v134, v134                               // 000000006DC8: 7F0C0B86
	v_cvt_f32_i32_e32 v135, v135                               // 000000006DCC: 7F0E0B87
	v_cvt_f32_i32_e32 v136, v136                               // 000000006DD0: 7F100B88
	v_cvt_f32_i32_e32 v137, v137                               // 000000006DD4: 7F120B89
	v_cvt_f32_i32_e32 v138, v138                               // 000000006DD8: 7F140B8A
	v_cvt_f32_i32_e32 v139, v139                               // 000000006DDC: 7F160B8B
	v_cvt_f32_i32_e32 v140, v140                               // 000000006DE0: 7F180B8C
	v_cvt_f32_i32_e32 v141, v141                               // 000000006DE4: 7F1A0B8D
	v_cvt_f32_i32_e32 v142, v142                               // 000000006DE8: 7F1C0B8E
	v_cvt_f32_i32_e32 v143, v143                               // 000000006DEC: 7F1E0B8F
	v_mul_f32_e32 v128, v54, v128                              // 000000006DF0: 0B010136
	v_mul_f32_e32 v129, v54, v129                              // 000000006DF4: 0B030336
	v_mul_f32_e32 v130, v54, v130                              // 000000006DF8: 0B050536
	v_mul_f32_e32 v131, v54, v131                              // 000000006DFC: 0B070736
	v_mul_f32_e32 v132, v54, v132                              // 000000006E00: 0B090936
	v_mul_f32_e32 v133, v54, v133                              // 000000006E04: 0B0B0B36
	v_mul_f32_e32 v134, v54, v134                              // 000000006E08: 0B0D0D36
	v_mul_f32_e32 v135, v54, v135                              // 000000006E0C: 0B0F0F36
	v_mul_f32_e32 v136, v54, v136                              // 000000006E10: 0B111136
	v_mul_f32_e32 v137, v54, v137                              // 000000006E14: 0B131336
	v_mul_f32_e32 v138, v54, v138                              // 000000006E18: 0B151536
	v_mul_f32_e32 v139, v54, v139                              // 000000006E1C: 0B171736
	v_mul_f32_e32 v140, v54, v140                              // 000000006E20: 0B191936
	v_mul_f32_e32 v141, v54, v141                              // 000000006E24: 0B1B1B36
	v_mul_f32_e32 v142, v54, v142                              // 000000006E28: 0B1D1D36
	v_mul_f32_e32 v143, v54, v143                              // 000000006E2C: 0B1F1F36
	buffer_load_dwordx4 a[16:19], v27, s[16:19], 0 offen       // 000000006E30: E05C1000 8084101B
	v_mul_f32_dpp v128, v248, v128 quad_perm:[0,0,0,0] row_mask:0xf bank_mask:0xf// 000000006E38: 0B0100FA FF0000F8
	v_mul_f32_dpp v129, v248, v129 quad_perm:[1,1,1,1] row_mask:0xf bank_mask:0xf// 000000006E40: 0B0302FA FF0055F8
	v_mul_f32_dpp v130, v248, v130 quad_perm:[2,2,2,2] row_mask:0xf bank_mask:0xf// 000000006E48: 0B0504FA FF00AAF8
	v_mul_f32_dpp v131, v248, v131 quad_perm:[3,3,3,3] row_mask:0xf bank_mask:0xf// 000000006E50: 0B0706FA FF00FFF8
	v_mul_f32_dpp v132, v249, v132 quad_perm:[0,0,0,0] row_mask:0xf bank_mask:0xf// 000000006E58: 0B0908FA FF0000F9
	v_mul_f32_dpp v133, v249, v133 quad_perm:[1,1,1,1] row_mask:0xf bank_mask:0xf// 000000006E60: 0B0B0AFA FF0055F9
	v_mul_f32_dpp v134, v249, v134 quad_perm:[2,2,2,2] row_mask:0xf bank_mask:0xf// 000000006E68: 0B0D0CFA FF00AAF9
	v_mul_f32_dpp v135, v249, v135 quad_perm:[3,3,3,3] row_mask:0xf bank_mask:0xf// 000000006E70: 0B0F0EFA FF00FFF9
	v_mul_f32_dpp v136, v250, v136 quad_perm:[0,0,0,0] row_mask:0xf bank_mask:0xf// 000000006E78: 0B1110FA FF0000FA
	v_mul_f32_dpp v137, v250, v137 quad_perm:[1,1,1,1] row_mask:0xf bank_mask:0xf// 000000006E80: 0B1312FA FF0055FA
	v_mul_f32_dpp v138, v250, v138 quad_perm:[2,2,2,2] row_mask:0xf bank_mask:0xf// 000000006E88: 0B1514FA FF00AAFA
	v_mul_f32_dpp v139, v250, v139 quad_perm:[3,3,3,3] row_mask:0xf bank_mask:0xf// 000000006E90: 0B1716FA FF00FFFA
	v_mul_f32_dpp v140, v251, v140 quad_perm:[0,0,0,0] row_mask:0xf bank_mask:0xf// 000000006E98: 0B1918FA FF0000FB
	v_mul_f32_dpp v141, v251, v141 quad_perm:[1,1,1,1] row_mask:0xf bank_mask:0xf// 000000006EA0: 0B1B1AFA FF0055FB
	v_mul_f32_dpp v142, v251, v142 quad_perm:[2,2,2,2] row_mask:0xf bank_mask:0xf// 000000006EA8: 0B1D1CFA FF00AAFB
	v_mul_f32_dpp v143, v251, v143 quad_perm:[3,3,3,3] row_mask:0xf bank_mask:0xf// 000000006EB0: 0B1F1EFA FF00FFFB
	buffer_load_dwordx4 a[20:23], v27, s[16:19], 0 offen offset:1024// 000000006EB8: E05C1400 8084141B
	v_mov_b32_e32 v62, v128                                    // 000000006EC0: 7E7C0380
	v_max3_f32 v62, v128, v129, v62                            // 000000006EC4: D1D3003E 04FB0380
	v_max3_f32 v62, v130, v131, v62                            // 000000006ECC: D1D3003E 04FB0782
	v_max3_f32 v62, v132, v133, v62                            // 000000006ED4: D1D3003E 04FB0B84
	v_max3_f32 v62, v134, v135, v62                            // 000000006EDC: D1D3003E 04FB0F86
	v_max3_f32 v62, v136, v137, v62                            // 000000006EE4: D1D3003E 04FB1388
	v_max3_f32 v62, v138, v139, v62                            // 000000006EEC: D1D3003E 04FB178A
	v_max3_f32 v62, v140, v141, v62                            // 000000006EF4: D1D3003E 04FB1B8C
	v_max3_f32 v62, v142, v143, v62                            // 000000006EFC: D1D3003E 04FB1F8E
	ds_write_b32 v11, v62 offset:16896                         // 000000006F04: D81A4200 00003E0B
	buffer_load_dwordx4 a[24:27], v28, s[16:19], 0 offen       // 000000006F0C: E05C1000 8084181C
	v_mul_u32_u24_dpp v41, v19, v68 row_newbcast:1 row_mask:0xf bank_mask:0xf// 000000006F14: 105288FA FF015113
	v_mul_u32_u24_dpp v42, v19, v68 row_newbcast:5 row_mask:0xf bank_mask:0xf// 000000006F1C: 105488FA FF015513
	v_mul_u32_u24_dpp v43, v19, v68 row_newbcast:9 row_mask:0xf bank_mask:0xf// 000000006F24: 105688FA FF015913
	v_mul_u32_u24_dpp v44, v19, v68 row_newbcast:13 row_mask:0xf bank_mask:0xf// 000000006F2C: 105888FA FF015D13
	v_add_u32_e32 v33, v41, v7                                 // 000000006F34: 68420F29
	v_add_u32_e32 v34, v42, v7                                 // 000000006F38: 68440F2A
	v_add_u32_e32 v35, v43, v7                                 // 000000006F3C: 68460F2B
	v_add_u32_e32 v36, v44, v7                                 // 000000006F40: 68480F2C
	v_mul_f32_e32 v224, v63, v224                              // 000000006F44: 0BC1C13F
	v_mul_f32_e32 v225, v63, v225                              // 000000006F48: 0BC3C33F
	v_mul_f32_e32 v226, v63, v226                              // 000000006F4C: 0BC5C53F
	v_mul_f32_e32 v227, v63, v227                              // 000000006F50: 0BC7C73F
	v_mul_f32_e32 v228, v63, v228                              // 000000006F54: 0BC9C93F
	v_mul_f32_e32 v229, v63, v229                              // 000000006F58: 0BCBCB3F
	v_mul_f32_e32 v230, v63, v230                              // 000000006F5C: 0BCDCD3F
	v_mul_f32_e32 v231, v63, v231                              // 000000006F60: 0BCFCF3F
	s_waitcnt lgkmcnt(0)                                       // 000000006F64: BF8CC07F
	s_barrier                                                  // 000000006F68: BF8A0000
	ds_read_b32 v80, v10 offset:16896                          // 000000006F6C: D86C4200 5000000A
	ds_read_b32 v81, v10 offset:16960                          // 000000006F74: D86C4240 5100000A
	ds_read_b32 v82, v10 offset:17024                          // 000000006F7C: D86C4280 5200000A
	ds_read_b32 v83, v10 offset:17088                          // 000000006F84: D86C42C0 5300000A
	ds_read_b32 v84, v10 offset:17152                          // 000000006F8C: D86C4300 5400000A
	ds_read_b32 v85, v10 offset:17216                          // 000000006F94: D86C4340 5500000A
	ds_read_b32 v86, v10 offset:17280                          // 000000006F9C: D86C4380 5600000A
	ds_read_b32 v87, v10 offset:17344                          // 000000006FA4: D86C43C0 5700000A
	ds_read_b32 v88, v10 offset:17408                          // 000000006FAC: D86C4400 5800000A
	ds_read_b32 v89, v10 offset:17472                          // 000000006FB4: D86C4440 5900000A
	ds_read_b32 v90, v10 offset:17536                          // 000000006FBC: D86C4480 5A00000A
	ds_read_b32 v91, v10 offset:17600                          // 000000006FC4: D86C44C0 5B00000A
	ds_read_b32 v92, v10 offset:17664                          // 000000006FCC: D86C4500 5C00000A
	ds_read_b32 v93, v10 offset:17728                          // 000000006FD4: D86C4540 5D00000A
	ds_read_b32 v94, v10 offset:17792                          // 000000006FDC: D86C4580 5E00000A
	ds_read_b32 v95, v10 offset:17856                          // 000000006FE4: D86C45C0 5F00000A
	buffer_load_dwordx4 a[28:31], v28, s[16:19], 0 offen offset:1024// 000000006FEC: E05C1400 80841C1C
	v_cvt_f32_i32_e32 v192, v192                               // 000000006FF4: 7F800BC0
	v_cvt_f32_i32_e32 v193, v193                               // 000000006FF8: 7F820BC1
	v_cvt_f32_i32_e32 v194, v194                               // 000000006FFC: 7F840BC2
	v_cvt_f32_i32_e32 v195, v195                               // 000000007000: 7F860BC3
	v_cvt_f32_i32_e32 v196, v196                               // 000000007004: 7F880BC4
	v_cvt_f32_i32_e32 v197, v197                               // 000000007008: 7F8A0BC5
	v_cvt_f32_i32_e32 v198, v198                               // 00000000700C: 7F8C0BC6
	v_cvt_f32_i32_e32 v199, v199                               // 000000007010: 7F8E0BC7
	v_mul_f32_e32 v192, v58, v192                              // 000000007014: 0B81813A
	v_mul_f32_e32 v193, v58, v193                              // 000000007018: 0B83833A
	v_mul_f32_e32 v194, v58, v194                              // 00000000701C: 0B85853A
	v_mul_f32_e32 v195, v58, v195                              // 000000007020: 0B87873A
	v_mul_f32_e32 v196, v58, v196                              // 000000007024: 0B89893A
	v_mul_f32_e32 v197, v58, v197                              // 000000007028: 0B8B8B3A
	v_mul_f32_e32 v198, v58, v198                              // 00000000702C: 0B8D8D3A
	v_mul_f32_e32 v199, v58, v199                              // 000000007030: 0B8F8F3A
	s_waitcnt lgkmcnt(0)                                       // 000000007034: BF8CC07F
	v_max3_f32 v62, v80, v81, v62                              // 000000007038: D1D3003E 04FAA350
	v_max3_f32 v62, v82, v83, v62                              // 000000007040: D1D3003E 04FAA752
	v_max3_f32 v62, v84, v85, v62                              // 000000007048: D1D3003E 04FAAB54
	v_max3_f32 v62, v86, v87, v62                              // 000000007050: D1D3003E 04FAAF56
	v_max3_f32 v62, v88, v89, v62                              // 000000007058: D1D3003E 04FAB358
	v_max3_f32 v62, v90, v91, v62                              // 000000007060: D1D3003E 04FAB75A
	v_max3_f32 v62, v92, v93, v62                              // 000000007068: D1D3003E 04FABB5C
	v_max3_f32 v62, v94, v95, v62                              // 000000007070: D1D3003E 04FABF5E
	buffer_load_dwordx4 a[64:67], v33, s[20:23], 0 offen       // 000000007078: E05C1000 80854021
	v_mov_b32_e32 v41, 0xff800000                              // 000000007080: 7E5202FF FF800000
	v_cmp_eq_u32_e64 s[40:41], v41, v14                        // 000000007088: D0CA0028 00021D29
	s_nop 1                                                    // 000000007090: BF800001
	v_max_f32_e32 v18, v62, v14                                // 000000007094: 16241D3E
	v_mul_f32_e32 v67, s64, v18                                // 000000007098: 0A862440
	v_fma_f32 v128, v128, s64, -v67                            // 00000000709C: D1CB0080 850C8180
	v_fma_f32 v129, v129, s64, -v67                            // 0000000070A4: D1CB0081 850C8181
	v_fma_f32 v130, v130, s64, -v67                            // 0000000070AC: D1CB0082 850C8182
	v_fma_f32 v131, v131, s64, -v67                            // 0000000070B4: D1CB0083 850C8183
	v_fma_f32 v132, v132, s64, -v67                            // 0000000070BC: D1CB0084 850C8184
	v_fma_f32 v133, v133, s64, -v67                            // 0000000070C4: D1CB0085 850C8185
	v_fma_f32 v134, v134, s64, -v67                            // 0000000070CC: D1CB0086 850C8186
	v_fma_f32 v135, v135, s64, -v67                            // 0000000070D4: D1CB0087 850C8187
	v_fma_f32 v136, v136, s64, -v67                            // 0000000070DC: D1CB0088 850C8188
	v_fma_f32 v137, v137, s64, -v67                            // 0000000070E4: D1CB0089 850C8189
	v_fma_f32 v138, v138, s64, -v67                            // 0000000070EC: D1CB008A 850C818A
	v_fma_f32 v139, v139, s64, -v67                            // 0000000070F4: D1CB008B 850C818B
	v_fma_f32 v140, v140, s64, -v67                            // 0000000070FC: D1CB008C 850C818C
	v_fma_f32 v141, v141, s64, -v67                            // 000000007104: D1CB008D 850C818D
	v_fma_f32 v142, v142, s64, -v67                            // 00000000710C: D1CB008E 850C818E
	v_fma_f32 v143, v143, s64, -v67                            // 000000007114: D1CB008F 850C818F
	buffer_load_dwordx4 a[68:71], v34, s[20:23], 0 offen       // 00000000711C: E05C1000 80854422
	v_exp_f32_e32 v128, v128                                   // 000000007124: 7F004180
	v_exp_f32_e32 v129, v129                                   // 000000007128: 7F024181
	v_exp_f32_e32 v130, v130                                   // 00000000712C: 7F044182
	v_exp_f32_e32 v131, v131                                   // 000000007130: 7F064183
	v_exp_f32_e32 v132, v132                                   // 000000007134: 7F084184
	v_exp_f32_e32 v133, v133                                   // 000000007138: 7F0A4185
	v_exp_f32_e32 v134, v134                                   // 00000000713C: 7F0C4186
	v_exp_f32_e32 v135, v135                                   // 000000007140: 7F0E4187
	v_exp_f32_e32 v136, v136                                   // 000000007144: 7F104188
	v_exp_f32_e32 v137, v137                                   // 000000007148: 7F124189
	v_exp_f32_e32 v138, v138                                   // 00000000714C: 7F14418A
	v_exp_f32_e32 v139, v139                                   // 000000007150: 7F16418B
	v_exp_f32_e32 v140, v140                                   // 000000007154: 7F18418C
	v_exp_f32_e32 v141, v141                                   // 000000007158: 7F1A418D
	v_exp_f32_e32 v142, v142                                   // 00000000715C: 7F1C418E
	v_exp_f32_e32 v143, v143                                   // 000000007160: 7F1E418F
	buffer_load_dwordx4 a[72:75], v35, s[20:23], 0 offen       // 000000007164: E05C1000 80854823
	v_mul_f32_dpp v240, v252, v128 quad_perm:[0,0,0,0] row_mask:0xf bank_mask:0xf// 00000000716C: 0BE100FA FF0000FC
	v_mul_f32_dpp v241, v252, v129 quad_perm:[1,1,1,1] row_mask:0xf bank_mask:0xf// 000000007174: 0BE302FA FF0055FC
	v_mul_f32_dpp v242, v252, v130 quad_perm:[2,2,2,2] row_mask:0xf bank_mask:0xf// 00000000717C: 0BE504FA FF00AAFC
	v_mul_f32_dpp v243, v252, v131 quad_perm:[3,3,3,3] row_mask:0xf bank_mask:0xf// 000000007184: 0BE706FA FF00FFFC
	v_mul_f32_dpp v244, v253, v132 quad_perm:[0,0,0,0] row_mask:0xf bank_mask:0xf// 00000000718C: 0BE908FA FF0000FD
	v_mul_f32_dpp v245, v253, v133 quad_perm:[1,1,1,1] row_mask:0xf bank_mask:0xf// 000000007194: 0BEB0AFA FF0055FD
	v_mul_f32_dpp v246, v253, v134 quad_perm:[2,2,2,2] row_mask:0xf bank_mask:0xf// 00000000719C: 0BED0CFA FF00AAFD
	v_mul_f32_dpp v247, v253, v135 quad_perm:[3,3,3,3] row_mask:0xf bank_mask:0xf// 0000000071A4: 0BEF0EFA FF00FFFD
	v_mul_f32_dpp v248, v254, v136 quad_perm:[0,0,0,0] row_mask:0xf bank_mask:0xf// 0000000071AC: 0BF110FA FF0000FE
	v_mul_f32_dpp v249, v254, v137 quad_perm:[1,1,1,1] row_mask:0xf bank_mask:0xf// 0000000071B4: 0BF312FA FF0055FE
	v_mul_f32_dpp v250, v254, v138 quad_perm:[2,2,2,2] row_mask:0xf bank_mask:0xf// 0000000071BC: 0BF514FA FF00AAFE
	v_mul_f32_dpp v251, v254, v139 quad_perm:[3,3,3,3] row_mask:0xf bank_mask:0xf// 0000000071C4: 0BF716FA FF00FFFE
	v_mul_f32_dpp v252, v255, v140 quad_perm:[0,0,0,0] row_mask:0xf bank_mask:0xf// 0000000071CC: 0BF918FA FF0000FF
	v_mul_f32_dpp v253, v255, v141 quad_perm:[1,1,1,1] row_mask:0xf bank_mask:0xf// 0000000071D4: 0BFB1AFA FF0055FF
	v_mul_f32_dpp v254, v255, v142 quad_perm:[2,2,2,2] row_mask:0xf bank_mask:0xf// 0000000071DC: 0BFD1CFA FF00AAFF
	v_mul_f32_dpp v255, v255, v143 quad_perm:[3,3,3,3] row_mask:0xf bank_mask:0xf// 0000000071E4: 0BFF1EFA FF00FFFF
	v_mov_b32_e32 v62, 0x358637bd                              // 0000000071EC: 7E7C02FF 358637BD
	v_max3_f32 v62, |v240|, |v241|, v62                        // 0000000071F4: D1D3033E 04FBE3F0
	v_max3_f32 v62, |v242|, |v243|, v62                        // 0000000071FC: D1D3033E 04FBE7F2
	v_max3_f32 v62, |v244|, |v245|, v62                        // 000000007204: D1D3033E 04FBEBF4
	v_max3_f32 v62, |v246|, |v247|, v62                        // 00000000720C: D1D3033E 04FBEFF6
	v_max3_f32 v62, |v248|, |v249|, v62                        // 000000007214: D1D3033E 04FBF3F8
	v_max3_f32 v62, |v250|, |v251|, v62                        // 00000000721C: D1D3033E 04FBF7FA
	v_max3_f32 v62, |v252|, |v253|, v62                        // 000000007224: D1D3033E 04FBFBFC
	v_max3_f32 v62, |v254|, |v255|, v62                        // 00000000722C: D1D3033E 04FBFFFE
	buffer_load_dwordx4 a[76:79], v36, s[20:23], 0 offen       // 000000007234: E05C1000 80854C24
	ds_write_b32 v11, v62 offset:20992                         // 00000000723C: D81A5200 00003E0B
	v_sub_f32_e32 v63, v14, v18                                // 000000007244: 047E250E
	v_cndmask_b32_e64 v63, v63, 0, s[40:41]                    // 000000007248: D100003F 00A1013F
	v_mov_b32_e32 v14, v18                                     // 000000007250: 7E1C0312
	v_mul_f32_e32 v63, s64, v63                                // 000000007254: 0A7E7E40
	v_exp_f32_e32 v63, v63                                     // 000000007258: 7E7E413F
	s_waitcnt lgkmcnt(0)                                       // 00000000725C: BF8CC07F
	s_barrier                                                  // 000000007260: BF8A0000
	ds_read_b32 v80, v10 offset:20992                          // 000000007264: D86C5200 5000000A
	ds_read_b32 v81, v10 offset:21056                          // 00000000726C: D86C5240 5100000A
	ds_read_b32 v82, v10 offset:21120                          // 000000007274: D86C5280 5200000A
	ds_read_b32 v83, v10 offset:21184                          // 00000000727C: D86C52C0 5300000A
	ds_read_b32 v84, v10 offset:21248                          // 000000007284: D86C5300 5400000A
	ds_read_b32 v85, v10 offset:21312                          // 00000000728C: D86C5340 5500000A
	ds_read_b32 v86, v10 offset:21376                          // 000000007294: D86C5380 5600000A
	ds_read_b32 v87, v10 offset:21440                          // 00000000729C: D86C53C0 5700000A
	ds_read_b32 v88, v10 offset:21504                          // 0000000072A4: D86C5400 5800000A
	ds_read_b32 v89, v10 offset:21568                          // 0000000072AC: D86C5440 5900000A
	ds_read_b32 v90, v10 offset:21632                          // 0000000072B4: D86C5480 5A00000A
	ds_read_b32 v91, v10 offset:21696                          // 0000000072BC: D86C54C0 5B00000A
	ds_read_b32 v92, v10 offset:21760                          // 0000000072C4: D86C5500 5C00000A
	ds_read_b32 v93, v10 offset:21824                          // 0000000072CC: D86C5540 5D00000A
	ds_read_b32 v94, v10 offset:21888                          // 0000000072D4: D86C5580 5E00000A
	ds_read_b32 v95, v10 offset:21952                          // 0000000072DC: D86C55C0 5F00000A
	v_mul_f32_e32 v47, v63, v47                                // 0000000072E4: 0A5E5F3F
	v_mov_b32_e32 v18, v128                                    // 0000000072E8: 7E240380
	v_add_f32_e32 v18, v129, v18                               // 0000000072EC: 02242581
	v_add_f32_e32 v18, v130, v18                               // 0000000072F0: 02242582
	v_add_f32_e32 v18, v131, v18                               // 0000000072F4: 02242583
	v_add_f32_e32 v18, v132, v18                               // 0000000072F8: 02242584
	v_add_f32_e32 v18, v133, v18                               // 0000000072FC: 02242585
	v_add_f32_e32 v18, v134, v18                               // 000000007300: 02242586
	v_add_f32_e32 v18, v135, v18                               // 000000007304: 02242587
	;; [unrolled: 1-line block ×3, first 2 shown]
	v_add_f32_e32 v18, v137, v18                               // 00000000730C: 02242589
	v_add_f32_e32 v18, v138, v18                               // 000000007310: 0224258A
	v_add_f32_e32 v18, v139, v18                               // 000000007314: 0224258B
	v_add_f32_e32 v18, v140, v18                               // 000000007318: 0224258C
	v_add_f32_e32 v18, v141, v18                               // 00000000731C: 0224258D
	v_add_f32_e32 v18, v142, v18                               // 000000007320: 0224258E
	v_add_f32_e32 v18, v143, v18                               // 000000007324: 0224258F
	v_add_f32_e32 v47, v18, v47                                // 000000007328: 025E5F12
	s_waitcnt lgkmcnt(0)                                       // 00000000732C: BF8CC07F
	v_max3_f32 v62, |v80|, |v81|, v62                          // 000000007330: D1D3033E 04FAA350
	v_max3_f32 v62, |v82|, |v83|, v62                          // 000000007338: D1D3033E 04FAA752
	v_max3_f32 v62, |v84|, |v85|, v62                          // 000000007340: D1D3033E 04FAAB54
	v_max3_f32 v62, |v86|, |v87|, v62                          // 000000007348: D1D3033E 04FAAF56
	v_max3_f32 v62, |v88|, |v89|, v62                          // 000000007350: D1D3033E 04FAB358
	v_max3_f32 v62, |v90|, |v91|, v62                          // 000000007358: D1D3033E 04FAB75A
	v_max3_f32 v62, |v92|, |v93|, v62                          // 000000007360: D1D3033E 04FABB5C
	v_max3_f32 v62, |v94|, |v95|, v62                          // 000000007368: D1D3033E 04FABF5E
	s_nop 2                                                    // 000000007370: BF800002
	v_rcp_f32_e32 v62, v62                                     // 000000007374: 7E7C453E
	s_nop 1                                                    // 000000007378: BF800001
	v_mul_f32_e32 v62, 0x42fe0000, v62                         // 00000000737C: 0A7C7CFF 42FE0000
	v_mul_f32_e32 v128, v62, v240                              // 000000007384: 0B01E13E
	v_mul_f32_e32 v129, v62, v241                              // 000000007388: 0B03E33E
	v_mul_f32_e32 v130, v62, v242                              // 00000000738C: 0B05E53E
	v_mul_f32_e32 v131, v62, v243                              // 000000007390: 0B07E73E
	v_mul_f32_e32 v132, v62, v244                              // 000000007394: 0B09E93E
	v_mul_f32_e32 v133, v62, v245                              // 000000007398: 0B0BEB3E
	v_mul_f32_e32 v134, v62, v246                              // 00000000739C: 0B0DED3E
	v_mul_f32_e32 v135, v62, v247                              // 0000000073A0: 0B0FEF3E
	v_mul_f32_e32 v136, v62, v248                              // 0000000073A4: 0B11F13E
	v_mul_f32_e32 v137, v62, v249                              // 0000000073A8: 0B13F33E
	v_mul_f32_e32 v138, v62, v250                              // 0000000073AC: 0B15F53E
	v_mul_f32_e32 v139, v62, v251                              // 0000000073B0: 0B17F73E
	v_mul_f32_e32 v140, v62, v252                              // 0000000073B4: 0B19F93E
	v_mul_f32_e32 v141, v62, v253                              // 0000000073B8: 0B1BFB3E
	v_mul_f32_e32 v142, v62, v254                              // 0000000073BC: 0B1DFD3E
	v_mul_f32_e32 v143, v62, v255                              // 0000000073C0: 0B1FFF3E
	v_cvt_i32_f32_e32 v128, v128                               // 0000000073C4: 7F001180
	v_cvt_i32_f32_e32 v129, v129                               // 0000000073C8: 7F021181
	v_cvt_i32_f32_e32 v130, v130                               // 0000000073CC: 7F041182
	v_cvt_i32_f32_e32 v131, v131                               // 0000000073D0: 7F061183
	v_cvt_i32_f32_e32 v132, v132                               // 0000000073D4: 7F081184
	v_cvt_i32_f32_e32 v133, v133                               // 0000000073D8: 7F0A1185
	v_cvt_i32_f32_e32 v134, v134                               // 0000000073DC: 7F0C1186
	v_cvt_i32_f32_e32 v135, v135                               // 0000000073E0: 7F0E1187
	v_cvt_i32_f32_e32 v136, v136                               // 0000000073E4: 7F101188
	v_cvt_i32_f32_e32 v137, v137                               // 0000000073E8: 7F121189
	v_cvt_i32_f32_e32 v138, v138                               // 0000000073EC: 7F14118A
	v_cvt_i32_f32_e32 v139, v139                               // 0000000073F0: 7F16118B
	v_cvt_i32_f32_e32 v140, v140                               // 0000000073F4: 7F18118C
	v_cvt_i32_f32_e32 v141, v141                               // 0000000073F8: 7F1A118D
	v_cvt_i32_f32_e32 v142, v142                               // 0000000073FC: 7F1C118E
	v_cvt_i32_f32_e32 v143, v143                               // 000000007400: 7F1E118F
	v_perm_b32 v128, v129, v128, s53                           // 000000007404: D1ED0080 00D70181
	v_perm_b32 v128, v130, v128, s54                           // 00000000740C: D1ED0080 00DB0182
	v_perm_b32 v128, v131, v128, s55                           // 000000007414: D1ED0080 00DF0183
	v_perm_b32 v129, v133, v132, s53                           // 00000000741C: D1ED0081 00D70985
	v_perm_b32 v129, v134, v129, s54                           // 000000007424: D1ED0081 00DB0386
	v_perm_b32 v129, v135, v129, s55                           // 00000000742C: D1ED0081 00DF0387
	v_perm_b32 v130, v137, v136, s53                           // 000000007434: D1ED0082 00D71189
	v_perm_b32 v130, v138, v130, s54                           // 00000000743C: D1ED0082 00DB058A
	v_perm_b32 v130, v139, v130, s55                           // 000000007444: D1ED0082 00DF058B
	v_perm_b32 v131, v141, v140, s53                           // 00000000744C: D1ED0083 00D7198D
	v_perm_b32 v131, v142, v131, s54                           // 000000007454: D1ED0083 00DB078E
	v_perm_b32 v131, v143, v131, s55                           // 00000000745C: D1ED0083 00DF078F
	ds_write_b32 v13, v128 offset:25088                        // 000000007464: D81A6200 0000800D
	ds_write_b32 v13, v129 offset:26112                        // 00000000746C: D81A6600 0000810D
	ds_write_b32 v13, v130 offset:27136                        // 000000007474: D81A6A00 0000820D
	ds_write_b32 v13, v131 offset:28160                        // 00000000747C: D81A6E00 0000830D
	v_add_f32_e32 v224, v224, v192                             // 000000007484: 03C181E0
	v_add_f32_e32 v225, v225, v193                             // 000000007488: 03C383E1
	v_add_f32_e32 v226, v226, v194                             // 00000000748C: 03C585E2
	v_add_f32_e32 v227, v227, v195                             // 000000007490: 03C787E3
	v_add_f32_e32 v228, v228, v196                             // 000000007494: 03C989E4
	v_add_f32_e32 v229, v229, v197                             // 000000007498: 03CB8BE5
	v_add_f32_e32 v230, v230, v198                             // 00000000749C: 03CD8DE6
	v_add_f32_e32 v231, v231, v199                             // 0000000074A0: 03CF8FE7
	v_rcp_f32_e32 v58, v62                                     // 0000000074A4: 7E74453E
	s_waitcnt lgkmcnt(0)                                       // 0000000074A8: BF8CC07F
	s_barrier                                                  // 0000000074AC: BF8A0000
	ds_read_b64 v[128:129], v12 offset:25088                   // 0000000074B0: D8EC6200 8000000C
	ds_read_b64 v[130:131], v12 offset:25216                   // 0000000074B8: D8EC6280 8200000C
	ds_read_b64 v[132:133], v12 offset:26112                   // 0000000074C0: D8EC6600 8400000C
	ds_read_b64 v[134:135], v12 offset:26240                   // 0000000074C8: D8EC6680 8600000C
	ds_read_b64 v[136:137], v12 offset:27136                   // 0000000074D0: D8EC6A00 8800000C
	ds_read_b64 v[138:139], v12 offset:27264                   // 0000000074D8: D8EC6A80 8A00000C
	ds_read_b64 v[140:141], v12 offset:28160                   // 0000000074E0: D8EC6E00 8C00000C
	ds_read_b64 v[142:143], v12 offset:28288                   // 0000000074E8: D8EC6E80 8E00000C
	s_waitcnt vmcnt(15)                                        // 0000000074F0: BF8C0F7F
	s_waitcnt lgkmcnt(7)                                       // 0000000074F4: BF8CC77F
	v_mfma_i32_16x16x32_i8 v[192:195], a[96:97], v[128:129], 0 // 0000000074F8: D3D700C0 0A030160
	s_waitcnt lgkmcnt(6)                                       // 000000007500: BF8CC67F
	v_mfma_i32_16x16x32_i8 v[192:195], a[98:99], v[130:131], v[192:195]// 000000007504: D3D700C0 0F030562
	buffer_load_dwordx4 a[80:83], v33, s[20:23], 0 offen offset:1024// 00000000750C: E05C1400 80855021
	s_waitcnt lgkmcnt(5)                                       // 000000007514: BF8CC57F
	v_mfma_i32_16x16x32_i8 v[192:195], a[100:101], v[132:133], v[192:195]// 000000007518: D3D700C0 0F030964
	s_waitcnt lgkmcnt(4)                                       // 000000007520: BF8CC47F
	v_mfma_i32_16x16x32_i8 v[192:195], a[102:103], v[134:135], v[192:195]// 000000007524: D3D700C0 0F030D66
	s_waitcnt lgkmcnt(3)                                       // 00000000752C: BF8CC37F
	v_mfma_i32_16x16x32_i8 v[192:195], a[104:105], v[136:137], v[192:195]// 000000007530: D3D700C0 0F031168
	s_waitcnt lgkmcnt(2)                                       // 000000007538: BF8CC27F
	v_mfma_i32_16x16x32_i8 v[192:195], a[106:107], v[138:139], v[192:195]// 00000000753C: D3D700C0 0F03156A
	buffer_load_dwordx4 a[84:87], v34, s[20:23], 0 offen offset:1024// 000000007544: E05C1400 80855422
	s_waitcnt lgkmcnt(1)                                       // 00000000754C: BF8CC17F
	v_mfma_i32_16x16x32_i8 v[192:195], a[108:109], v[140:141], v[192:195]// 000000007550: D3D700C0 0F03196C
	s_waitcnt lgkmcnt(0)                                       // 000000007558: BF8CC07F
	v_mfma_i32_16x16x32_i8 v[192:195], a[110:111], v[142:143], v[192:195]// 00000000755C: D3D700C0 0F031D6E
	v_mfma_i32_16x16x32_i8 v[196:199], a[112:113], v[128:129], 0// 000000007564: D3D700C4 0A030170
	v_mfma_i32_16x16x32_i8 v[196:199], a[114:115], v[130:131], v[196:199]// 00000000756C: D3D700C4 0F130572
	buffer_load_dwordx4 a[88:91], v35, s[20:23], 0 offen offset:1024// 000000007574: E05C1400 80855823
	v_mfma_i32_16x16x32_i8 v[196:199], a[116:117], v[132:133], v[196:199]// 00000000757C: D3D700C4 0F130974
	v_mfma_i32_16x16x32_i8 v[196:199], a[118:119], v[134:135], v[196:199]// 000000007584: D3D700C4 0F130D76
	v_mfma_i32_16x16x32_i8 v[196:199], a[120:121], v[136:137], v[196:199]// 00000000758C: D3D700C4 0F131178
	v_mfma_i32_16x16x32_i8 v[196:199], a[122:123], v[138:139], v[196:199]// 000000007594: D3D700C4 0F13157A
	buffer_load_dwordx4 a[92:95], v36, s[20:23], 0 offen offset:1024// 00000000759C: E05C1400 80855C24
	v_mfma_i32_16x16x32_i8 v[196:199], a[124:125], v[140:141], v[196:199]// 0000000075A4: D3D700C4 0F13197C
	s_lshr_b32 s57, s70, 4                                     // 0000000075AC: 8F398446
	s_add_u32 s57, 48, s57                                     // 0000000075B0: 803939B0
	v_mfma_i32_16x16x32_i8 v[196:199], a[126:127], v[142:143], v[196:199]// 0000000075B4: D3D700C4 0F131D7E
	s_cmp_ge_u32 s57, s73                                      // 0000000075BC: BF094939
	s_cselect_b32 s56, 0, s56                                  // 0000000075C0: 85383880
	v_add_u32_e32 v1, s56, v1                                  // 0000000075C4: 68020238
	s_addk_i32 s70, 0x100                                      // 0000000075C8: B7460100
	s_cmp_lt_i32 s70, s71                                      // 0000000075CC: BF044746
	s_cbranch_scc0 label_14F6                                  // 0000000075D0: BF840001
	s_branch label_0FF9                                        // 0000000075D4: BF82FB03

00000000000075d8 <label_14F6>:
	s_nop 0                                                    // 0000000075D8: BF800000
	s_nop 0                                                    // 0000000075DC: BF800000
	s_branch label_19F6                                        // 0000000075E0: BF8204FD

00000000000075e4 <label_14F9>:
	s_waitcnt vmcnt(8) lgkmcnt(0)                              // 0000000075E4: BF8C0078
	v_mul_u32_u24_dpp v41, v20, v68 row_newbcast:0 row_mask:0xf bank_mask:0xf// 0000000075E8: 105288FA FF015014
	v_mul_u32_u24_dpp v42, v20, v68 row_newbcast:4 row_mask:0xf bank_mask:0xf// 0000000075F0: 105488FA FF015414
	v_mul_u32_u24_dpp v43, v20, v68 row_newbcast:8 row_mask:0xf bank_mask:0xf// 0000000075F8: 105688FA FF015814
	v_mul_u32_u24_dpp v44, v20, v68 row_newbcast:12 row_mask:0xf bank_mask:0xf// 000000007600: 105888FA FF015C14
	v_add_u32_e32 v29, v41, v6                                 // 000000007608: 683A0D29
	v_add_u32_e32 v30, v42, v6                                 // 00000000760C: 683C0D2A
	v_add_u32_e32 v31, v43, v6                                 // 000000007610: 683E0D2B
	v_add_u32_e32 v32, v44, v6                                 // 000000007614: 68400D2C
	v_mul_u32_u24_dpp v41, v20, v78 quad_perm:[0,0,0,0] row_mask:0xf bank_mask:0xf// 000000007618: 10529CFA FF000014
	v_add_u32_e32 v3, v41, v74                                 // 000000007620: 68069529
	v_mul_u32_u24_dpp v41, v20, v78 quad_perm:[0,0,0,0] row_mask:0xf bank_mask:0xf// 000000007624: 10529CFA FF000014
	v_add_u32_e32 v71, v41, v75                                // 00000000762C: 688E9729
	v_mfma_i32_16x16x32_i8 v[128:131], a[0:1], v[96:97], 0     // 000000007630: D3D70080 0A02C100
	buffer_load_dwordx4 a[32:35], v29, s[16:19], 0 offen       // 000000007638: E05C1000 8084201D
	v_mfma_i32_16x16x32_i8 v[128:131], a[2:3], v[98:99], v[128:131]// 000000007640: D3D70080 0E02C502
	v_mfma_i32_16x16x32_i8 v[128:131], a[4:5], v[100:101], v[128:131]// 000000007648: D3D70080 0E02C904
	buffer_load_dword v19, v1, s[24:27], 0 offen               // 000000007650: E0501000 80061301
	v_mfma_i32_16x16x32_i8 v[128:131], a[6:7], v[102:103], v[128:131]// 000000007658: D3D70080 0E02CD06
	v_mfma_i32_16x16x32_i8 v[132:135], a[8:9], v[96:97], 0     // 000000007660: D3D70084 0A02C108
	buffer_load_dwordx4 a[36:39], v29, s[16:19], 0 offen offset:1024// 000000007668: E05C1400 8084241D
	v_mfma_i32_16x16x32_i8 v[132:135], a[10:11], v[98:99], v[132:135]// 000000007670: D3D70084 0E12C50A
	v_mfma_i32_16x16x32_i8 v[132:135], a[12:13], v[100:101], v[132:135]// 000000007678: D3D70084 0E12C90C
	v_mfma_i32_16x16x32_i8 v[132:135], a[14:15], v[102:103], v[132:135]// 000000007680: D3D70084 0E12CD0E
	v_mfma_i32_16x16x32_i8 v[136:139], a[16:17], v[96:97], 0   // 000000007688: D3D70088 0A02C110
	buffer_load_dwordx4 a[40:43], v30, s[16:19], 0 offen       // 000000007690: E05C1000 8084281E
	v_mfma_i32_16x16x32_i8 v[136:139], a[18:19], v[98:99], v[136:139]// 000000007698: D3D70088 0E22C512
	v_mfma_i32_16x16x32_i8 v[136:139], a[20:21], v[100:101], v[136:139]// 0000000076A0: D3D70088 0E22C914
	v_mfma_i32_16x16x32_i8 v[136:139], a[22:23], v[102:103], v[136:139]// 0000000076A8: D3D70088 0E22CD16
	v_mfma_i32_16x16x32_i8 v[140:143], a[24:25], v[96:97], 0   // 0000000076B0: D3D7008C 0A02C118
	buffer_load_dwordx4 a[44:47], v30, s[16:19], 0 offen offset:1024// 0000000076B8: E05C1400 80842C1E
	v_mfma_i32_16x16x32_i8 v[140:143], a[26:27], v[98:99], v[140:143]// 0000000076C0: D3D7008C 0E32C51A
	v_mfma_i32_16x16x32_i8 v[140:143], a[28:29], v[100:101], v[140:143]// 0000000076C8: D3D7008C 0E32C91C
	v_mfma_i32_16x16x32_i8 v[140:143], a[30:31], v[102:103], v[140:143]// 0000000076D0: D3D7008C 0E32CD1E
	buffer_load_dword v53, v3, s[32:35], 0 offen               // 0000000076D8: E0501000 80083503
	v_mov_b32_dpp v41, v52 row_shr:4 row_mask:0xf bank_mask:0xf// 0000000076E0: 7E5202FA FF011434
	v_mov_b32_dpp v42, v52 row_shl:4 row_mask:0xf bank_mask:0xf// 0000000076E8: 7E5402FA FF010434
	v_cndmask_b32_e64 v248, v52, v41, s[44:45]                 // 0000000076F0: D10000F8 00B25334
	v_cndmask_b32_e64 v249, v42, v52, s[44:45]                 // 0000000076F8: D10000F9 00B2692A
	v_mov_b32_dpp v41, v248 row_shr:8 row_mask:0xf bank_mask:0xf// 000000007700: 7E5202FA FF0118F8
	v_mov_b32_dpp v42, v248 row_shl:8 row_mask:0xf bank_mask:0xf// 000000007708: 7E5402FA FF0108F8
	v_mov_b32_dpp v43, v249 row_shr:8 row_mask:0xf bank_mask:0xf// 000000007710: 7E5602FA FF0118F9
	v_mov_b32_dpp v44, v249 row_shl:8 row_mask:0xf bank_mask:0xf// 000000007718: 7E5802FA FF0108F9
	v_mov_b32_e32 v45, v248                                    // 000000007720: 7E5A03F8
	v_mov_b32_e32 v46, v249                                    // 000000007724: 7E5C03F9
	v_cndmask_b32_e64 v248, v45, v41, s[42:43]                 // 000000007728: D10000F8 00AA532D
	v_cndmask_b32_e64 v250, v45, v42, s[78:79]                 // 000000007730: D10000FA 013A552D
	v_cndmask_b32_e64 v249, v46, v43, s[42:43]                 // 000000007738: D10000F9 00AA572E
	v_cndmask_b32_e64 v251, v46, v44, s[78:79]                 // 000000007740: D10000FB 013A592E
	v_mov_b32_dpp v41, v72 row_shr:4 row_mask:0xf bank_mask:0xf// 000000007748: 7E5202FA FF011448
	v_mov_b32_dpp v42, v72 row_shl:4 row_mask:0xf bank_mask:0xf// 000000007750: 7E5402FA FF010448
	v_cndmask_b32_e64 v252, v72, v41, s[44:45]                 // 000000007758: D10000FC 00B25348
	v_cndmask_b32_e64 v253, v42, v72, s[44:45]                 // 000000007760: D10000FD 00B2912A
	v_mov_b32_dpp v41, v252 row_shr:8 row_mask:0xf bank_mask:0xf// 000000007768: 7E5202FA FF0118FC
	v_mov_b32_dpp v42, v252 row_shl:8 row_mask:0xf bank_mask:0xf// 000000007770: 7E5402FA FF0108FC
	v_mov_b32_dpp v43, v253 row_shr:8 row_mask:0xf bank_mask:0xf// 000000007778: 7E5602FA FF0118FD
	v_mov_b32_dpp v44, v253 row_shl:8 row_mask:0xf bank_mask:0xf// 000000007780: 7E5802FA FF0108FD
	v_mov_b32_e32 v45, v252                                    // 000000007788: 7E5A03FC
	v_mov_b32_e32 v46, v253                                    // 00000000778C: 7E5C03FD
	v_cndmask_b32_e64 v252, v45, v41, s[42:43]                 // 000000007790: D10000FC 00AA532D
	v_cndmask_b32_e64 v254, v45, v42, s[78:79]                 // 000000007798: D10000FE 013A552D
	v_cndmask_b32_e64 v253, v46, v43, s[42:43]                 // 0000000077A0: D10000FD 00AA572E
	v_cndmask_b32_e64 v255, v46, v44, s[78:79]                 // 0000000077A8: D10000FF 013A592E
	buffer_load_dword v73, v71, s[36:39], 0 offen              // 0000000077B0: E0501000 80094947
	v_cvt_f32_i32_e32 v128, v128                               // 0000000077B8: 7F000B80
	v_cvt_f32_i32_e32 v129, v129                               // 0000000077BC: 7F020B81
	v_cvt_f32_i32_e32 v130, v130                               // 0000000077C0: 7F040B82
	v_cvt_f32_i32_e32 v131, v131                               // 0000000077C4: 7F060B83
	v_cvt_f32_i32_e32 v132, v132                               // 0000000077C8: 7F080B84
	v_cvt_f32_i32_e32 v133, v133                               // 0000000077CC: 7F0A0B85
	v_cvt_f32_i32_e32 v134, v134                               // 0000000077D0: 7F0C0B86
	v_cvt_f32_i32_e32 v135, v135                               // 0000000077D4: 7F0E0B87
	v_cvt_f32_i32_e32 v136, v136                               // 0000000077D8: 7F100B88
	v_cvt_f32_i32_e32 v137, v137                               // 0000000077DC: 7F120B89
	v_cvt_f32_i32_e32 v138, v138                               // 0000000077E0: 7F140B8A
	v_cvt_f32_i32_e32 v139, v139                               // 0000000077E4: 7F160B8B
	v_cvt_f32_i32_e32 v140, v140                               // 0000000077E8: 7F180B8C
	v_cvt_f32_i32_e32 v141, v141                               // 0000000077EC: 7F1A0B8D
	v_cvt_f32_i32_e32 v142, v142                               // 0000000077F0: 7F1C0B8E
	v_cvt_f32_i32_e32 v143, v143                               // 0000000077F4: 7F1E0B8F
	v_mul_f32_e32 v128, v54, v128                              // 0000000077F8: 0B010136
	v_mul_f32_e32 v129, v54, v129                              // 0000000077FC: 0B030336
	v_mul_f32_e32 v130, v54, v130                              // 000000007800: 0B050536
	v_mul_f32_e32 v131, v54, v131                              // 000000007804: 0B070736
	v_mul_f32_e32 v132, v54, v132                              // 000000007808: 0B090936
	v_mul_f32_e32 v133, v54, v133                              // 00000000780C: 0B0B0B36
	v_mul_f32_e32 v134, v54, v134                              // 000000007810: 0B0D0D36
	v_mul_f32_e32 v135, v54, v135                              // 000000007814: 0B0F0F36
	v_mul_f32_e32 v136, v54, v136                              // 000000007818: 0B111136
	v_mul_f32_e32 v137, v54, v137                              // 00000000781C: 0B131336
	v_mul_f32_e32 v138, v54, v138                              // 000000007820: 0B151536
	v_mul_f32_e32 v139, v54, v139                              // 000000007824: 0B171736
	v_mul_f32_e32 v140, v54, v140                              // 000000007828: 0B191936
	v_mul_f32_e32 v141, v54, v141                              // 00000000782C: 0B1B1B36
	v_mul_f32_e32 v142, v54, v142                              // 000000007830: 0B1D1D36
	v_mul_f32_e32 v143, v54, v143                              // 000000007834: 0B1F1F36
	buffer_load_dwordx4 a[48:51], v31, s[16:19], 0 offen       // 000000007838: E05C1000 8084301F
	v_mul_f32_dpp v128, v248, v128 quad_perm:[0,0,0,0] row_mask:0xf bank_mask:0xf// 000000007840: 0B0100FA FF0000F8
	v_mul_f32_dpp v129, v248, v129 quad_perm:[1,1,1,1] row_mask:0xf bank_mask:0xf// 000000007848: 0B0302FA FF0055F8
	v_mul_f32_dpp v130, v248, v130 quad_perm:[2,2,2,2] row_mask:0xf bank_mask:0xf// 000000007850: 0B0504FA FF00AAF8
	v_mul_f32_dpp v131, v248, v131 quad_perm:[3,3,3,3] row_mask:0xf bank_mask:0xf// 000000007858: 0B0706FA FF00FFF8
	v_mul_f32_dpp v132, v249, v132 quad_perm:[0,0,0,0] row_mask:0xf bank_mask:0xf// 000000007860: 0B0908FA FF0000F9
	v_mul_f32_dpp v133, v249, v133 quad_perm:[1,1,1,1] row_mask:0xf bank_mask:0xf// 000000007868: 0B0B0AFA FF0055F9
	v_mul_f32_dpp v134, v249, v134 quad_perm:[2,2,2,2] row_mask:0xf bank_mask:0xf// 000000007870: 0B0D0CFA FF00AAF9
	v_mul_f32_dpp v135, v249, v135 quad_perm:[3,3,3,3] row_mask:0xf bank_mask:0xf// 000000007878: 0B0F0EFA FF00FFF9
	v_mul_f32_dpp v136, v250, v136 quad_perm:[0,0,0,0] row_mask:0xf bank_mask:0xf// 000000007880: 0B1110FA FF0000FA
	v_mul_f32_dpp v137, v250, v137 quad_perm:[1,1,1,1] row_mask:0xf bank_mask:0xf// 000000007888: 0B1312FA FF0055FA
	v_mul_f32_dpp v138, v250, v138 quad_perm:[2,2,2,2] row_mask:0xf bank_mask:0xf// 000000007890: 0B1514FA FF00AAFA
	v_mul_f32_dpp v139, v250, v139 quad_perm:[3,3,3,3] row_mask:0xf bank_mask:0xf// 000000007898: 0B1716FA FF00FFFA
	v_mul_f32_dpp v140, v251, v140 quad_perm:[0,0,0,0] row_mask:0xf bank_mask:0xf// 0000000078A0: 0B1918FA FF0000FB
	v_mul_f32_dpp v141, v251, v141 quad_perm:[1,1,1,1] row_mask:0xf bank_mask:0xf// 0000000078A8: 0B1B1AFA FF0055FB
	v_mul_f32_dpp v142, v251, v142 quad_perm:[2,2,2,2] row_mask:0xf bank_mask:0xf// 0000000078B0: 0B1D1CFA FF00AAFB
	v_mul_f32_dpp v143, v251, v143 quad_perm:[3,3,3,3] row_mask:0xf bank_mask:0xf// 0000000078B8: 0B1F1EFA FF00FFFB
	buffer_load_dwordx4 a[52:55], v31, s[16:19], 0 offen offset:1024// 0000000078C0: E05C1400 8084341F
	v_mov_b32_e32 v62, v128                                    // 0000000078C8: 7E7C0380
	v_max3_f32 v62, v128, v129, v62                            // 0000000078CC: D1D3003E 04FB0380
	v_max3_f32 v62, v130, v131, v62                            // 0000000078D4: D1D3003E 04FB0782
	v_max3_f32 v62, v132, v133, v62                            // 0000000078DC: D1D3003E 04FB0B84
	v_max3_f32 v62, v134, v135, v62                            // 0000000078E4: D1D3003E 04FB0F86
	v_max3_f32 v62, v136, v137, v62                            // 0000000078EC: D1D3003E 04FB1388
	v_max3_f32 v62, v138, v139, v62                            // 0000000078F4: D1D3003E 04FB178A
	v_max3_f32 v62, v140, v141, v62                            // 0000000078FC: D1D3003E 04FB1B8C
	v_max3_f32 v62, v142, v143, v62                            // 000000007904: D1D3003E 04FB1F8E
	ds_write_b32 v11, v62 offset:16896                         // 00000000790C: D81A4200 00003E0B
	buffer_load_dwordx4 a[56:59], v32, s[16:19], 0 offen       // 000000007914: E05C1000 80843820
	v_mul_u32_u24_dpp v41, v20, v68 row_newbcast:1 row_mask:0xf bank_mask:0xf// 00000000791C: 105288FA FF015114
	v_mul_u32_u24_dpp v42, v20, v68 row_newbcast:5 row_mask:0xf bank_mask:0xf// 000000007924: 105488FA FF015514
	v_mul_u32_u24_dpp v43, v20, v68 row_newbcast:9 row_mask:0xf bank_mask:0xf// 00000000792C: 105688FA FF015914
	v_mul_u32_u24_dpp v44, v20, v68 row_newbcast:13 row_mask:0xf bank_mask:0xf// 000000007934: 105888FA FF015D14
	v_add_u32_e32 v37, v41, v7                                 // 00000000793C: 684A0F29
	v_add_u32_e32 v38, v42, v7                                 // 000000007940: 684C0F2A
	v_add_u32_e32 v39, v43, v7                                 // 000000007944: 684E0F2B
	v_add_u32_e32 v40, v44, v7                                 // 000000007948: 68500F2C
	v_mul_f32_e32 v224, v63, v224                              // 00000000794C: 0BC1C13F
	v_mul_f32_e32 v225, v63, v225                              // 000000007950: 0BC3C33F
	v_mul_f32_e32 v226, v63, v226                              // 000000007954: 0BC5C53F
	v_mul_f32_e32 v227, v63, v227                              // 000000007958: 0BC7C73F
	v_mul_f32_e32 v228, v63, v228                              // 00000000795C: 0BC9C93F
	v_mul_f32_e32 v229, v63, v229                              // 000000007960: 0BCBCB3F
	v_mul_f32_e32 v230, v63, v230                              // 000000007964: 0BCDCD3F
	v_mul_f32_e32 v231, v63, v231                              // 000000007968: 0BCFCF3F
	s_waitcnt lgkmcnt(0)                                       // 00000000796C: BF8CC07F
	s_barrier                                                  // 000000007970: BF8A0000
	ds_read_b32 v80, v10 offset:16896                          // 000000007974: D86C4200 5000000A
	ds_read_b32 v81, v10 offset:16960                          // 00000000797C: D86C4240 5100000A
	ds_read_b32 v82, v10 offset:17024                          // 000000007984: D86C4280 5200000A
	ds_read_b32 v83, v10 offset:17088                          // 00000000798C: D86C42C0 5300000A
	ds_read_b32 v84, v10 offset:17152                          // 000000007994: D86C4300 5400000A
	ds_read_b32 v85, v10 offset:17216                          // 00000000799C: D86C4340 5500000A
	ds_read_b32 v86, v10 offset:17280                          // 0000000079A4: D86C4380 5600000A
	ds_read_b32 v87, v10 offset:17344                          // 0000000079AC: D86C43C0 5700000A
	ds_read_b32 v88, v10 offset:17408                          // 0000000079B4: D86C4400 5800000A
	ds_read_b32 v89, v10 offset:17472                          // 0000000079BC: D86C4440 5900000A
	ds_read_b32 v90, v10 offset:17536                          // 0000000079C4: D86C4480 5A00000A
	ds_read_b32 v91, v10 offset:17600                          // 0000000079CC: D86C44C0 5B00000A
	ds_read_b32 v92, v10 offset:17664                          // 0000000079D4: D86C4500 5C00000A
	ds_read_b32 v93, v10 offset:17728                          // 0000000079DC: D86C4540 5D00000A
	ds_read_b32 v94, v10 offset:17792                          // 0000000079E4: D86C4580 5E00000A
	ds_read_b32 v95, v10 offset:17856                          // 0000000079EC: D86C45C0 5F00000A
	buffer_load_dwordx4 a[60:63], v32, s[16:19], 0 offen offset:1024// 0000000079F4: E05C1400 80843C20
	v_cvt_f32_i32_e32 v192, v192                               // 0000000079FC: 7F800BC0
	v_cvt_f32_i32_e32 v193, v193                               // 000000007A00: 7F820BC1
	v_cvt_f32_i32_e32 v194, v194                               // 000000007A04: 7F840BC2
	v_cvt_f32_i32_e32 v195, v195                               // 000000007A08: 7F860BC3
	v_cvt_f32_i32_e32 v196, v196                               // 000000007A0C: 7F880BC4
	v_cvt_f32_i32_e32 v197, v197                               // 000000007A10: 7F8A0BC5
	v_cvt_f32_i32_e32 v198, v198                               // 000000007A14: 7F8C0BC6
	v_cvt_f32_i32_e32 v199, v199                               // 000000007A18: 7F8E0BC7
	v_mul_f32_e32 v192, v58, v192                              // 000000007A1C: 0B81813A
	v_mul_f32_e32 v193, v58, v193                              // 000000007A20: 0B83833A
	v_mul_f32_e32 v194, v58, v194                              // 000000007A24: 0B85853A
	v_mul_f32_e32 v195, v58, v195                              // 000000007A28: 0B87873A
	v_mul_f32_e32 v196, v58, v196                              // 000000007A2C: 0B89893A
	v_mul_f32_e32 v197, v58, v197                              // 000000007A30: 0B8B8B3A
	v_mul_f32_e32 v198, v58, v198                              // 000000007A34: 0B8D8D3A
	v_mul_f32_e32 v199, v58, v199                              // 000000007A38: 0B8F8F3A
	s_waitcnt lgkmcnt(0)                                       // 000000007A3C: BF8CC07F
	v_max3_f32 v62, v80, v81, v62                              // 000000007A40: D1D3003E 04FAA350
	v_max3_f32 v62, v82, v83, v62                              // 000000007A48: D1D3003E 04FAA752
	v_max3_f32 v62, v84, v85, v62                              // 000000007A50: D1D3003E 04FAAB54
	v_max3_f32 v62, v86, v87, v62                              // 000000007A58: D1D3003E 04FAAF56
	v_max3_f32 v62, v88, v89, v62                              // 000000007A60: D1D3003E 04FAB358
	v_max3_f32 v62, v90, v91, v62                              // 000000007A68: D1D3003E 04FAB75A
	v_max3_f32 v62, v92, v93, v62                              // 000000007A70: D1D3003E 04FABB5C
	v_max3_f32 v62, v94, v95, v62                              // 000000007A78: D1D3003E 04FABF5E
	buffer_load_dwordx4 a[96:99], v37, s[20:23], 0 offen       // 000000007A80: E05C1000 80856025
	v_mov_b32_e32 v41, 0xff800000                              // 000000007A88: 7E5202FF FF800000
	v_cmp_eq_u32_e64 s[40:41], v41, v14                        // 000000007A90: D0CA0028 00021D29
	s_nop 1                                                    // 000000007A98: BF800001
	v_max_f32_e32 v18, v62, v14                                // 000000007A9C: 16241D3E
	v_mul_f32_e32 v67, s64, v18                                // 000000007AA0: 0A862440
	v_fma_f32 v128, v128, s64, -v67                            // 000000007AA4: D1CB0080 850C8180
	v_fma_f32 v129, v129, s64, -v67                            // 000000007AAC: D1CB0081 850C8181
	v_fma_f32 v130, v130, s64, -v67                            // 000000007AB4: D1CB0082 850C8182
	v_fma_f32 v131, v131, s64, -v67                            // 000000007ABC: D1CB0083 850C8183
	v_fma_f32 v132, v132, s64, -v67                            // 000000007AC4: D1CB0084 850C8184
	v_fma_f32 v133, v133, s64, -v67                            // 000000007ACC: D1CB0085 850C8185
	v_fma_f32 v134, v134, s64, -v67                            // 000000007AD4: D1CB0086 850C8186
	v_fma_f32 v135, v135, s64, -v67                            // 000000007ADC: D1CB0087 850C8187
	v_fma_f32 v136, v136, s64, -v67                            // 000000007AE4: D1CB0088 850C8188
	v_fma_f32 v137, v137, s64, -v67                            // 000000007AEC: D1CB0089 850C8189
	v_fma_f32 v138, v138, s64, -v67                            // 000000007AF4: D1CB008A 850C818A
	v_fma_f32 v139, v139, s64, -v67                            // 000000007AFC: D1CB008B 850C818B
	v_fma_f32 v140, v140, s64, -v67                            // 000000007B04: D1CB008C 850C818C
	v_fma_f32 v141, v141, s64, -v67                            // 000000007B0C: D1CB008D 850C818D
	v_fma_f32 v142, v142, s64, -v67                            // 000000007B14: D1CB008E 850C818E
	v_fma_f32 v143, v143, s64, -v67                            // 000000007B1C: D1CB008F 850C818F
	buffer_load_dwordx4 a[100:103], v38, s[20:23], 0 offen     // 000000007B24: E05C1000 80856426
	v_exp_f32_e32 v128, v128                                   // 000000007B2C: 7F004180
	v_exp_f32_e32 v129, v129                                   // 000000007B30: 7F024181
	v_exp_f32_e32 v130, v130                                   // 000000007B34: 7F044182
	v_exp_f32_e32 v131, v131                                   // 000000007B38: 7F064183
	v_exp_f32_e32 v132, v132                                   // 000000007B3C: 7F084184
	v_exp_f32_e32 v133, v133                                   // 000000007B40: 7F0A4185
	v_exp_f32_e32 v134, v134                                   // 000000007B44: 7F0C4186
	v_exp_f32_e32 v135, v135                                   // 000000007B48: 7F0E4187
	v_exp_f32_e32 v136, v136                                   // 000000007B4C: 7F104188
	v_exp_f32_e32 v137, v137                                   // 000000007B50: 7F124189
	v_exp_f32_e32 v138, v138                                   // 000000007B54: 7F14418A
	v_exp_f32_e32 v139, v139                                   // 000000007B58: 7F16418B
	v_exp_f32_e32 v140, v140                                   // 000000007B5C: 7F18418C
	v_exp_f32_e32 v141, v141                                   // 000000007B60: 7F1A418D
	v_exp_f32_e32 v142, v142                                   // 000000007B64: 7F1C418E
	v_exp_f32_e32 v143, v143                                   // 000000007B68: 7F1E418F
	buffer_load_dwordx4 a[104:107], v39, s[20:23], 0 offen     // 000000007B6C: E05C1000 80856827
	v_mul_f32_dpp v240, v252, v128 quad_perm:[0,0,0,0] row_mask:0xf bank_mask:0xf// 000000007B74: 0BE100FA FF0000FC
	v_mul_f32_dpp v241, v252, v129 quad_perm:[1,1,1,1] row_mask:0xf bank_mask:0xf// 000000007B7C: 0BE302FA FF0055FC
	v_mul_f32_dpp v242, v252, v130 quad_perm:[2,2,2,2] row_mask:0xf bank_mask:0xf// 000000007B84: 0BE504FA FF00AAFC
	v_mul_f32_dpp v243, v252, v131 quad_perm:[3,3,3,3] row_mask:0xf bank_mask:0xf// 000000007B8C: 0BE706FA FF00FFFC
	v_mul_f32_dpp v244, v253, v132 quad_perm:[0,0,0,0] row_mask:0xf bank_mask:0xf// 000000007B94: 0BE908FA FF0000FD
	v_mul_f32_dpp v245, v253, v133 quad_perm:[1,1,1,1] row_mask:0xf bank_mask:0xf// 000000007B9C: 0BEB0AFA FF0055FD
	v_mul_f32_dpp v246, v253, v134 quad_perm:[2,2,2,2] row_mask:0xf bank_mask:0xf// 000000007BA4: 0BED0CFA FF00AAFD
	v_mul_f32_dpp v247, v253, v135 quad_perm:[3,3,3,3] row_mask:0xf bank_mask:0xf// 000000007BAC: 0BEF0EFA FF00FFFD
	v_mul_f32_dpp v248, v254, v136 quad_perm:[0,0,0,0] row_mask:0xf bank_mask:0xf// 000000007BB4: 0BF110FA FF0000FE
	v_mul_f32_dpp v249, v254, v137 quad_perm:[1,1,1,1] row_mask:0xf bank_mask:0xf// 000000007BBC: 0BF312FA FF0055FE
	v_mul_f32_dpp v250, v254, v138 quad_perm:[2,2,2,2] row_mask:0xf bank_mask:0xf// 000000007BC4: 0BF514FA FF00AAFE
	v_mul_f32_dpp v251, v254, v139 quad_perm:[3,3,3,3] row_mask:0xf bank_mask:0xf// 000000007BCC: 0BF716FA FF00FFFE
	v_mul_f32_dpp v252, v255, v140 quad_perm:[0,0,0,0] row_mask:0xf bank_mask:0xf// 000000007BD4: 0BF918FA FF0000FF
	v_mul_f32_dpp v253, v255, v141 quad_perm:[1,1,1,1] row_mask:0xf bank_mask:0xf// 000000007BDC: 0BFB1AFA FF0055FF
	v_mul_f32_dpp v254, v255, v142 quad_perm:[2,2,2,2] row_mask:0xf bank_mask:0xf// 000000007BE4: 0BFD1CFA FF00AAFF
	v_mul_f32_dpp v255, v255, v143 quad_perm:[3,3,3,3] row_mask:0xf bank_mask:0xf// 000000007BEC: 0BFF1EFA FF00FFFF
	v_mov_b32_e32 v62, 0x358637bd                              // 000000007BF4: 7E7C02FF 358637BD
	v_max3_f32 v62, |v240|, |v241|, v62                        // 000000007BFC: D1D3033E 04FBE3F0
	v_max3_f32 v62, |v242|, |v243|, v62                        // 000000007C04: D1D3033E 04FBE7F2
	v_max3_f32 v62, |v244|, |v245|, v62                        // 000000007C0C: D1D3033E 04FBEBF4
	v_max3_f32 v62, |v246|, |v247|, v62                        // 000000007C14: D1D3033E 04FBEFF6
	v_max3_f32 v62, |v248|, |v249|, v62                        // 000000007C1C: D1D3033E 04FBF3F8
	v_max3_f32 v62, |v250|, |v251|, v62                        // 000000007C24: D1D3033E 04FBF7FA
	v_max3_f32 v62, |v252|, |v253|, v62                        // 000000007C2C: D1D3033E 04FBFBFC
	v_max3_f32 v62, |v254|, |v255|, v62                        // 000000007C34: D1D3033E 04FBFFFE
	buffer_load_dwordx4 a[108:111], v40, s[20:23], 0 offen     // 000000007C3C: E05C1000 80856C28
	ds_write_b32 v11, v62 offset:20992                         // 000000007C44: D81A5200 00003E0B
	v_sub_f32_e32 v63, v14, v18                                // 000000007C4C: 047E250E
	v_cndmask_b32_e64 v63, v63, 0, s[40:41]                    // 000000007C50: D100003F 00A1013F
	v_mov_b32_e32 v14, v18                                     // 000000007C58: 7E1C0312
	v_mul_f32_e32 v63, s64, v63                                // 000000007C5C: 0A7E7E40
	v_exp_f32_e32 v63, v63                                     // 000000007C60: 7E7E413F
	s_waitcnt lgkmcnt(0)                                       // 000000007C64: BF8CC07F
	s_barrier                                                  // 000000007C68: BF8A0000
	ds_read_b32 v80, v10 offset:20992                          // 000000007C6C: D86C5200 5000000A
	ds_read_b32 v81, v10 offset:21056                          // 000000007C74: D86C5240 5100000A
	ds_read_b32 v82, v10 offset:21120                          // 000000007C7C: D86C5280 5200000A
	ds_read_b32 v83, v10 offset:21184                          // 000000007C84: D86C52C0 5300000A
	ds_read_b32 v84, v10 offset:21248                          // 000000007C8C: D86C5300 5400000A
	ds_read_b32 v85, v10 offset:21312                          // 000000007C94: D86C5340 5500000A
	ds_read_b32 v86, v10 offset:21376                          // 000000007C9C: D86C5380 5600000A
	ds_read_b32 v87, v10 offset:21440                          // 000000007CA4: D86C53C0 5700000A
	ds_read_b32 v88, v10 offset:21504                          // 000000007CAC: D86C5400 5800000A
	ds_read_b32 v89, v10 offset:21568                          // 000000007CB4: D86C5440 5900000A
	ds_read_b32 v90, v10 offset:21632                          // 000000007CBC: D86C5480 5A00000A
	ds_read_b32 v91, v10 offset:21696                          // 000000007CC4: D86C54C0 5B00000A
	ds_read_b32 v92, v10 offset:21760                          // 000000007CCC: D86C5500 5C00000A
	ds_read_b32 v93, v10 offset:21824                          // 000000007CD4: D86C5540 5D00000A
	ds_read_b32 v94, v10 offset:21888                          // 000000007CDC: D86C5580 5E00000A
	ds_read_b32 v95, v10 offset:21952                          // 000000007CE4: D86C55C0 5F00000A
	v_mul_f32_e32 v47, v63, v47                                // 000000007CEC: 0A5E5F3F
	v_mov_b32_e32 v18, v128                                    // 000000007CF0: 7E240380
	v_add_f32_e32 v18, v129, v18                               // 000000007CF4: 02242581
	v_add_f32_e32 v18, v130, v18                               // 000000007CF8: 02242582
	v_add_f32_e32 v18, v131, v18                               // 000000007CFC: 02242583
	v_add_f32_e32 v18, v132, v18                               // 000000007D00: 02242584
	v_add_f32_e32 v18, v133, v18                               // 000000007D04: 02242585
	v_add_f32_e32 v18, v134, v18                               // 000000007D08: 02242586
	v_add_f32_e32 v18, v135, v18                               // 000000007D0C: 02242587
	v_add_f32_e32 v18, v136, v18                               // 000000007D10: 02242588
	v_add_f32_e32 v18, v137, v18                               // 000000007D14: 02242589
	v_add_f32_e32 v18, v138, v18                               // 000000007D18: 0224258A
	v_add_f32_e32 v18, v139, v18                               // 000000007D1C: 0224258B
	v_add_f32_e32 v18, v140, v18                               // 000000007D20: 0224258C
	v_add_f32_e32 v18, v141, v18                               // 000000007D24: 0224258D
	v_add_f32_e32 v18, v142, v18                               // 000000007D28: 0224258E
	v_add_f32_e32 v18, v143, v18                               // 000000007D2C: 0224258F
	v_add_f32_e32 v47, v18, v47                                // 000000007D30: 025E5F12
	s_waitcnt lgkmcnt(0)                                       // 000000007D34: BF8CC07F
	v_max3_f32 v62, |v80|, |v81|, v62                          // 000000007D38: D1D3033E 04FAA350
	v_max3_f32 v62, |v82|, |v83|, v62                          // 000000007D40: D1D3033E 04FAA752
	v_max3_f32 v62, |v84|, |v85|, v62                          // 000000007D48: D1D3033E 04FAAB54
	v_max3_f32 v62, |v86|, |v87|, v62                          // 000000007D50: D1D3033E 04FAAF56
	v_max3_f32 v62, |v88|, |v89|, v62                          // 000000007D58: D1D3033E 04FAB358
	v_max3_f32 v62, |v90|, |v91|, v62                          // 000000007D60: D1D3033E 04FAB75A
	v_max3_f32 v62, |v92|, |v93|, v62                          // 000000007D68: D1D3033E 04FABB5C
	v_max3_f32 v62, |v94|, |v95|, v62                          // 000000007D70: D1D3033E 04FABF5E
	s_nop 2                                                    // 000000007D78: BF800002
	v_rcp_f32_e32 v62, v62                                     // 000000007D7C: 7E7C453E
	s_nop 1                                                    // 000000007D80: BF800001
	v_mul_f32_e32 v62, 0x42fe0000, v62                         // 000000007D84: 0A7C7CFF 42FE0000
	v_mul_f32_e32 v128, v62, v240                              // 000000007D8C: 0B01E13E
	v_mul_f32_e32 v129, v62, v241                              // 000000007D90: 0B03E33E
	v_mul_f32_e32 v130, v62, v242                              // 000000007D94: 0B05E53E
	v_mul_f32_e32 v131, v62, v243                              // 000000007D98: 0B07E73E
	v_mul_f32_e32 v132, v62, v244                              // 000000007D9C: 0B09E93E
	v_mul_f32_e32 v133, v62, v245                              // 000000007DA0: 0B0BEB3E
	v_mul_f32_e32 v134, v62, v246                              // 000000007DA4: 0B0DED3E
	v_mul_f32_e32 v135, v62, v247                              // 000000007DA8: 0B0FEF3E
	v_mul_f32_e32 v136, v62, v248                              // 000000007DAC: 0B11F13E
	v_mul_f32_e32 v137, v62, v249                              // 000000007DB0: 0B13F33E
	v_mul_f32_e32 v138, v62, v250                              // 000000007DB4: 0B15F53E
	v_mul_f32_e32 v139, v62, v251                              // 000000007DB8: 0B17F73E
	v_mul_f32_e32 v140, v62, v252                              // 000000007DBC: 0B19F93E
	v_mul_f32_e32 v141, v62, v253                              // 000000007DC0: 0B1BFB3E
	v_mul_f32_e32 v142, v62, v254                              // 000000007DC4: 0B1DFD3E
	v_mul_f32_e32 v143, v62, v255                              // 000000007DC8: 0B1FFF3E
	v_cvt_i32_f32_e32 v128, v128                               // 000000007DCC: 7F001180
	v_cvt_i32_f32_e32 v129, v129                               // 000000007DD0: 7F021181
	v_cvt_i32_f32_e32 v130, v130                               // 000000007DD4: 7F041182
	v_cvt_i32_f32_e32 v131, v131                               // 000000007DD8: 7F061183
	v_cvt_i32_f32_e32 v132, v132                               // 000000007DDC: 7F081184
	v_cvt_i32_f32_e32 v133, v133                               // 000000007DE0: 7F0A1185
	v_cvt_i32_f32_e32 v134, v134                               // 000000007DE4: 7F0C1186
	v_cvt_i32_f32_e32 v135, v135                               // 000000007DE8: 7F0E1187
	v_cvt_i32_f32_e32 v136, v136                               // 000000007DEC: 7F101188
	v_cvt_i32_f32_e32 v137, v137                               // 000000007DF0: 7F121189
	v_cvt_i32_f32_e32 v138, v138                               // 000000007DF4: 7F14118A
	v_cvt_i32_f32_e32 v139, v139                               // 000000007DF8: 7F16118B
	v_cvt_i32_f32_e32 v140, v140                               // 000000007DFC: 7F18118C
	v_cvt_i32_f32_e32 v141, v141                               // 000000007E00: 7F1A118D
	v_cvt_i32_f32_e32 v142, v142                               // 000000007E04: 7F1C118E
	v_cvt_i32_f32_e32 v143, v143                               // 000000007E08: 7F1E118F
	v_perm_b32 v128, v129, v128, s53                           // 000000007E0C: D1ED0080 00D70181
	v_perm_b32 v128, v130, v128, s54                           // 000000007E14: D1ED0080 00DB0182
	v_perm_b32 v128, v131, v128, s55                           // 000000007E1C: D1ED0080 00DF0183
	v_perm_b32 v129, v133, v132, s53                           // 000000007E24: D1ED0081 00D70985
	v_perm_b32 v129, v134, v129, s54                           // 000000007E2C: D1ED0081 00DB0386
	v_perm_b32 v129, v135, v129, s55                           // 000000007E34: D1ED0081 00DF0387
	v_perm_b32 v130, v137, v136, s53                           // 000000007E3C: D1ED0082 00D71189
	v_perm_b32 v130, v138, v130, s54                           // 000000007E44: D1ED0082 00DB058A
	v_perm_b32 v130, v139, v130, s55                           // 000000007E4C: D1ED0082 00DF058B
	v_perm_b32 v131, v141, v140, s53                           // 000000007E54: D1ED0083 00D7198D
	v_perm_b32 v131, v142, v131, s54                           // 000000007E5C: D1ED0083 00DB078E
	v_perm_b32 v131, v143, v131, s55                           // 000000007E64: D1ED0083 00DF078F
	ds_write_b32 v13, v128 offset:25088                        // 000000007E6C: D81A6200 0000800D
	ds_write_b32 v13, v129 offset:26112                        // 000000007E74: D81A6600 0000810D
	ds_write_b32 v13, v130 offset:27136                        // 000000007E7C: D81A6A00 0000820D
	ds_write_b32 v13, v131 offset:28160                        // 000000007E84: D81A6E00 0000830D
	v_add_f32_e32 v224, v224, v192                             // 000000007E8C: 03C181E0
	v_add_f32_e32 v225, v225, v193                             // 000000007E90: 03C383E1
	v_add_f32_e32 v226, v226, v194                             // 000000007E94: 03C585E2
	v_add_f32_e32 v227, v227, v195                             // 000000007E98: 03C787E3
	v_add_f32_e32 v228, v228, v196                             // 000000007E9C: 03C989E4
	v_add_f32_e32 v229, v229, v197                             // 000000007EA0: 03CB8BE5
	v_add_f32_e32 v230, v230, v198                             // 000000007EA4: 03CD8DE6
	v_add_f32_e32 v231, v231, v199                             // 000000007EA8: 03CF8FE7
	v_rcp_f32_e32 v58, v62                                     // 000000007EAC: 7E74453E
	s_waitcnt lgkmcnt(0)                                       // 000000007EB0: BF8CC07F
	s_barrier                                                  // 000000007EB4: BF8A0000
	ds_read_b64 v[128:129], v12 offset:25088                   // 000000007EB8: D8EC6200 8000000C
	ds_read_b64 v[130:131], v12 offset:25216                   // 000000007EC0: D8EC6280 8200000C
	ds_read_b64 v[132:133], v12 offset:26112                   // 000000007EC8: D8EC6600 8400000C
	ds_read_b64 v[134:135], v12 offset:26240                   // 000000007ED0: D8EC6680 8600000C
	ds_read_b64 v[136:137], v12 offset:27136                   // 000000007ED8: D8EC6A00 8800000C
	ds_read_b64 v[138:139], v12 offset:27264                   // 000000007EE0: D8EC6A80 8A00000C
	ds_read_b64 v[140:141], v12 offset:28160                   // 000000007EE8: D8EC6E00 8C00000C
	ds_read_b64 v[142:143], v12 offset:28288                   // 000000007EF0: D8EC6E80 8E00000C
	s_waitcnt vmcnt(15)                                        // 000000007EF8: BF8C0F7F
	s_waitcnt lgkmcnt(7)                                       // 000000007EFC: BF8CC77F
	v_mfma_i32_16x16x32_i8 v[192:195], a[64:65], v[128:129], 0 // 000000007F00: D3D700C0 0A030140
	buffer_load_dwordx4 a[112:115], v37, s[20:23], 0 offen offset:1024// 000000007F08: E05C1400 80857025
	s_waitcnt lgkmcnt(6)                                       // 000000007F10: BF8CC67F
	v_mfma_i32_16x16x32_i8 v[192:195], a[66:67], v[130:131], v[192:195]// 000000007F14: D3D700C0 0F030542
	s_waitcnt lgkmcnt(5)                                       // 000000007F1C: BF8CC57F
	v_mfma_i32_16x16x32_i8 v[192:195], a[68:69], v[132:133], v[192:195]// 000000007F20: D3D700C0 0F030944
	s_waitcnt lgkmcnt(4)                                       // 000000007F28: BF8CC47F
	v_mfma_i32_16x16x32_i8 v[192:195], a[70:71], v[134:135], v[192:195]// 000000007F2C: D3D700C0 0F030D46
	s_waitcnt lgkmcnt(3)                                       // 000000007F34: BF8CC37F
	v_mfma_i32_16x16x32_i8 v[192:195], a[72:73], v[136:137], v[192:195]// 000000007F38: D3D700C0 0F031148
	buffer_load_dwordx4 a[116:119], v38, s[20:23], 0 offen offset:1024// 000000007F40: E05C1400 80857426
	s_waitcnt lgkmcnt(2)                                       // 000000007F48: BF8CC27F
	v_mfma_i32_16x16x32_i8 v[192:195], a[74:75], v[138:139], v[192:195]// 000000007F4C: D3D700C0 0F03154A
	s_waitcnt lgkmcnt(1)                                       // 000000007F54: BF8CC17F
	v_mfma_i32_16x16x32_i8 v[192:195], a[76:77], v[140:141], v[192:195]// 000000007F58: D3D700C0 0F03194C
	s_waitcnt lgkmcnt(0)                                       // 000000007F60: BF8CC07F
	v_mfma_i32_16x16x32_i8 v[192:195], a[78:79], v[142:143], v[192:195]// 000000007F64: D3D700C0 0F031D4E
	v_mfma_i32_16x16x32_i8 v[196:199], a[80:81], v[128:129], 0 // 000000007F6C: D3D700C4 0A030150
	buffer_load_dwordx4 a[120:123], v39, s[20:23], 0 offen offset:1024// 000000007F74: E05C1400 80857827
	v_mfma_i32_16x16x32_i8 v[196:199], a[82:83], v[130:131], v[196:199]// 000000007F7C: D3D700C4 0F130552
	v_mfma_i32_16x16x32_i8 v[196:199], a[84:85], v[132:133], v[196:199]// 000000007F84: D3D700C4 0F130954
	v_mfma_i32_16x16x32_i8 v[196:199], a[86:87], v[134:135], v[196:199]// 000000007F8C: D3D700C4 0F130D56
	v_mfma_i32_16x16x32_i8 v[196:199], a[88:89], v[136:137], v[196:199]// 000000007F94: D3D700C4 0F131158
	buffer_load_dwordx4 a[124:127], v40, s[20:23], 0 offen offset:1024// 000000007F9C: E05C1400 80857C28
	v_mfma_i32_16x16x32_i8 v[196:199], a[90:91], v[138:139], v[196:199]// 000000007FA4: D3D700C4 0F13155A
	v_mfma_i32_16x16x32_i8 v[196:199], a[92:93], v[140:141], v[196:199]// 000000007FAC: D3D700C4 0F13195C
	s_lshr_b32 s57, s70, 4                                     // 000000007FB4: 8F398446
	s_add_u32 s57, 48, s57                                     // 000000007FB8: 803939B0
	v_mfma_i32_16x16x32_i8 v[196:199], a[94:95], v[142:143], v[196:199]// 000000007FBC: D3D700C4 0F131D5E
	s_cmp_ge_u32 s57, s73                                      // 000000007FC4: BF094939
	s_cselect_b32 s56, 0, s56                                  // 000000007FC8: 85383880
	v_add_u32_e32 v1, s56, v1                                  // 000000007FCC: 68020238
	s_addk_i32 s70, 0x100                                      // 000000007FD0: B7460100
	s_cmp_lt_i32 s70, s71                                      // 000000007FD4: BF044746
	s_cbranch_scc0 label_14F6                                  // 000000007FD8: BF84FD7F
	s_waitcnt vmcnt(8) lgkmcnt(0)                              // 000000007FDC: BF8C0078
	v_mul_u32_u24_dpp v41, v19, v68 row_newbcast:0 row_mask:0xf bank_mask:0xf// 000000007FE0: 105288FA FF015013
	v_mul_u32_u24_dpp v42, v19, v68 row_newbcast:4 row_mask:0xf bank_mask:0xf// 000000007FE8: 105488FA FF015413
	v_mul_u32_u24_dpp v43, v19, v68 row_newbcast:8 row_mask:0xf bank_mask:0xf// 000000007FF0: 105688FA FF015813
	v_mul_u32_u24_dpp v44, v19, v68 row_newbcast:12 row_mask:0xf bank_mask:0xf// 000000007FF8: 105888FA FF015C13
	v_add_u32_e32 v25, v41, v6                                 // 000000008000: 68320D29
	v_add_u32_e32 v26, v42, v6                                 // 000000008004: 68340D2A
	v_add_u32_e32 v27, v43, v6                                 // 000000008008: 68360D2B
	v_add_u32_e32 v28, v44, v6                                 // 00000000800C: 68380D2C
	v_mul_u32_u24_dpp v41, v19, v78 quad_perm:[0,0,0,0] row_mask:0xf bank_mask:0xf// 000000008010: 10529CFA FF000013
	v_add_u32_e32 v2, v41, v74                                 // 000000008018: 68049529
	v_mul_u32_u24_dpp v41, v19, v78 quad_perm:[0,0,0,0] row_mask:0xf bank_mask:0xf// 00000000801C: 10529CFA FF000013
	v_add_u32_e32 v70, v41, v75                                // 000000008024: 688C9729
	v_mfma_i32_16x16x32_i8 v[128:131], a[32:33], v[96:97], 0   // 000000008028: D3D70080 0A02C120
	buffer_load_dwordx4 a[0:3], v25, s[16:19], 0 offen         // 000000008030: E05C1000 80840019
	v_mfma_i32_16x16x32_i8 v[128:131], a[34:35], v[98:99], v[128:131]// 000000008038: D3D70080 0E02C522
	v_mfma_i32_16x16x32_i8 v[128:131], a[36:37], v[100:101], v[128:131]// 000000008040: D3D70080 0E02C924
	buffer_load_dword v20, v1, s[24:27], 0 offen               // 000000008048: E0501000 80061401
	v_mfma_i32_16x16x32_i8 v[128:131], a[38:39], v[102:103], v[128:131]// 000000008050: D3D70080 0E02CD26
	v_mfma_i32_16x16x32_i8 v[132:135], a[40:41], v[96:97], 0   // 000000008058: D3D70084 0A02C128
	buffer_load_dwordx4 a[4:7], v25, s[16:19], 0 offen offset:1024// 000000008060: E05C1400 80840419
	v_mfma_i32_16x16x32_i8 v[132:135], a[42:43], v[98:99], v[132:135]// 000000008068: D3D70084 0E12C52A
	v_mfma_i32_16x16x32_i8 v[132:135], a[44:45], v[100:101], v[132:135]// 000000008070: D3D70084 0E12C92C
	v_mfma_i32_16x16x32_i8 v[132:135], a[46:47], v[102:103], v[132:135]// 000000008078: D3D70084 0E12CD2E
	v_mfma_i32_16x16x32_i8 v[136:139], a[48:49], v[96:97], 0   // 000000008080: D3D70088 0A02C130
	buffer_load_dwordx4 a[8:11], v26, s[16:19], 0 offen        // 000000008088: E05C1000 8084081A
	v_mfma_i32_16x16x32_i8 v[136:139], a[50:51], v[98:99], v[136:139]// 000000008090: D3D70088 0E22C532
	v_mfma_i32_16x16x32_i8 v[136:139], a[52:53], v[100:101], v[136:139]// 000000008098: D3D70088 0E22C934
	v_mfma_i32_16x16x32_i8 v[136:139], a[54:55], v[102:103], v[136:139]// 0000000080A0: D3D70088 0E22CD36
	v_mfma_i32_16x16x32_i8 v[140:143], a[56:57], v[96:97], 0   // 0000000080A8: D3D7008C 0A02C138
	buffer_load_dwordx4 a[12:15], v26, s[16:19], 0 offen offset:1024// 0000000080B0: E05C1400 80840C1A
	v_mfma_i32_16x16x32_i8 v[140:143], a[58:59], v[98:99], v[140:143]// 0000000080B8: D3D7008C 0E32C53A
	v_mfma_i32_16x16x32_i8 v[140:143], a[60:61], v[100:101], v[140:143]// 0000000080C0: D3D7008C 0E32C93C
	v_mfma_i32_16x16x32_i8 v[140:143], a[62:63], v[102:103], v[140:143]// 0000000080C8: D3D7008C 0E32CD3E
	buffer_load_dword v52, v2, s[32:35], 0 offen               // 0000000080D0: E0501000 80083402
	v_mov_b32_dpp v41, v53 row_shr:4 row_mask:0xf bank_mask:0xf// 0000000080D8: 7E5202FA FF011435
	v_mov_b32_dpp v42, v53 row_shl:4 row_mask:0xf bank_mask:0xf// 0000000080E0: 7E5402FA FF010435
	v_cndmask_b32_e64 v248, v53, v41, s[44:45]                 // 0000000080E8: D10000F8 00B25335
	v_cndmask_b32_e64 v249, v42, v53, s[44:45]                 // 0000000080F0: D10000F9 00B26B2A
	v_mov_b32_dpp v41, v248 row_shr:8 row_mask:0xf bank_mask:0xf// 0000000080F8: 7E5202FA FF0118F8
	v_mov_b32_dpp v42, v248 row_shl:8 row_mask:0xf bank_mask:0xf// 000000008100: 7E5402FA FF0108F8
	v_mov_b32_dpp v43, v249 row_shr:8 row_mask:0xf bank_mask:0xf// 000000008108: 7E5602FA FF0118F9
	v_mov_b32_dpp v44, v249 row_shl:8 row_mask:0xf bank_mask:0xf// 000000008110: 7E5802FA FF0108F9
	v_mov_b32_e32 v45, v248                                    // 000000008118: 7E5A03F8
	v_mov_b32_e32 v46, v249                                    // 00000000811C: 7E5C03F9
	v_cndmask_b32_e64 v248, v45, v41, s[42:43]                 // 000000008120: D10000F8 00AA532D
	v_cndmask_b32_e64 v250, v45, v42, s[78:79]                 // 000000008128: D10000FA 013A552D
	v_cndmask_b32_e64 v249, v46, v43, s[42:43]                 // 000000008130: D10000F9 00AA572E
	v_cndmask_b32_e64 v251, v46, v44, s[78:79]                 // 000000008138: D10000FB 013A592E
	v_mov_b32_dpp v41, v73 row_shr:4 row_mask:0xf bank_mask:0xf// 000000008140: 7E5202FA FF011449
	v_mov_b32_dpp v42, v73 row_shl:4 row_mask:0xf bank_mask:0xf// 000000008148: 7E5402FA FF010449
	v_cndmask_b32_e64 v252, v73, v41, s[44:45]                 // 000000008150: D10000FC 00B25349
	v_cndmask_b32_e64 v253, v42, v73, s[44:45]                 // 000000008158: D10000FD 00B2932A
	v_mov_b32_dpp v41, v252 row_shr:8 row_mask:0xf bank_mask:0xf// 000000008160: 7E5202FA FF0118FC
	v_mov_b32_dpp v42, v252 row_shl:8 row_mask:0xf bank_mask:0xf// 000000008168: 7E5402FA FF0108FC
	v_mov_b32_dpp v43, v253 row_shr:8 row_mask:0xf bank_mask:0xf// 000000008170: 7E5602FA FF0118FD
	v_mov_b32_dpp v44, v253 row_shl:8 row_mask:0xf bank_mask:0xf// 000000008178: 7E5802FA FF0108FD
	v_mov_b32_e32 v45, v252                                    // 000000008180: 7E5A03FC
	v_mov_b32_e32 v46, v253                                    // 000000008184: 7E5C03FD
	v_cndmask_b32_e64 v252, v45, v41, s[42:43]                 // 000000008188: D10000FC 00AA532D
	v_cndmask_b32_e64 v254, v45, v42, s[78:79]                 // 000000008190: D10000FE 013A552D
	v_cndmask_b32_e64 v253, v46, v43, s[42:43]                 // 000000008198: D10000FD 00AA572E
	v_cndmask_b32_e64 v255, v46, v44, s[78:79]                 // 0000000081A0: D10000FF 013A592E
	buffer_load_dword v72, v70, s[36:39], 0 offen              // 0000000081A8: E0501000 80094846
	v_cvt_f32_i32_e32 v128, v128                               // 0000000081B0: 7F000B80
	v_cvt_f32_i32_e32 v129, v129                               // 0000000081B4: 7F020B81
	v_cvt_f32_i32_e32 v130, v130                               // 0000000081B8: 7F040B82
	v_cvt_f32_i32_e32 v131, v131                               // 0000000081BC: 7F060B83
	v_cvt_f32_i32_e32 v132, v132                               // 0000000081C0: 7F080B84
	v_cvt_f32_i32_e32 v133, v133                               // 0000000081C4: 7F0A0B85
	v_cvt_f32_i32_e32 v134, v134                               // 0000000081C8: 7F0C0B86
	v_cvt_f32_i32_e32 v135, v135                               // 0000000081CC: 7F0E0B87
	v_cvt_f32_i32_e32 v136, v136                               // 0000000081D0: 7F100B88
	v_cvt_f32_i32_e32 v137, v137                               // 0000000081D4: 7F120B89
	v_cvt_f32_i32_e32 v138, v138                               // 0000000081D8: 7F140B8A
	v_cvt_f32_i32_e32 v139, v139                               // 0000000081DC: 7F160B8B
	v_cvt_f32_i32_e32 v140, v140                               // 0000000081E0: 7F180B8C
	v_cvt_f32_i32_e32 v141, v141                               // 0000000081E4: 7F1A0B8D
	v_cvt_f32_i32_e32 v142, v142                               // 0000000081E8: 7F1C0B8E
	v_cvt_f32_i32_e32 v143, v143                               // 0000000081EC: 7F1E0B8F
	v_mul_f32_e32 v128, v54, v128                              // 0000000081F0: 0B010136
	v_mul_f32_e32 v129, v54, v129                              // 0000000081F4: 0B030336
	v_mul_f32_e32 v130, v54, v130                              // 0000000081F8: 0B050536
	v_mul_f32_e32 v131, v54, v131                              // 0000000081FC: 0B070736
	v_mul_f32_e32 v132, v54, v132                              // 000000008200: 0B090936
	v_mul_f32_e32 v133, v54, v133                              // 000000008204: 0B0B0B36
	v_mul_f32_e32 v134, v54, v134                              // 000000008208: 0B0D0D36
	v_mul_f32_e32 v135, v54, v135                              // 00000000820C: 0B0F0F36
	v_mul_f32_e32 v136, v54, v136                              // 000000008210: 0B111136
	v_mul_f32_e32 v137, v54, v137                              // 000000008214: 0B131336
	v_mul_f32_e32 v138, v54, v138                              // 000000008218: 0B151536
	v_mul_f32_e32 v139, v54, v139                              // 00000000821C: 0B171736
	v_mul_f32_e32 v140, v54, v140                              // 000000008220: 0B191936
	v_mul_f32_e32 v141, v54, v141                              // 000000008224: 0B1B1B36
	v_mul_f32_e32 v142, v54, v142                              // 000000008228: 0B1D1D36
	v_mul_f32_e32 v143, v54, v143                              // 00000000822C: 0B1F1F36
	buffer_load_dwordx4 a[16:19], v27, s[16:19], 0 offen       // 000000008230: E05C1000 8084101B
	v_mul_f32_dpp v128, v248, v128 quad_perm:[0,0,0,0] row_mask:0xf bank_mask:0xf// 000000008238: 0B0100FA FF0000F8
	v_mul_f32_dpp v129, v248, v129 quad_perm:[1,1,1,1] row_mask:0xf bank_mask:0xf// 000000008240: 0B0302FA FF0055F8
	v_mul_f32_dpp v130, v248, v130 quad_perm:[2,2,2,2] row_mask:0xf bank_mask:0xf// 000000008248: 0B0504FA FF00AAF8
	v_mul_f32_dpp v131, v248, v131 quad_perm:[3,3,3,3] row_mask:0xf bank_mask:0xf// 000000008250: 0B0706FA FF00FFF8
	v_mul_f32_dpp v132, v249, v132 quad_perm:[0,0,0,0] row_mask:0xf bank_mask:0xf// 000000008258: 0B0908FA FF0000F9
	v_mul_f32_dpp v133, v249, v133 quad_perm:[1,1,1,1] row_mask:0xf bank_mask:0xf// 000000008260: 0B0B0AFA FF0055F9
	v_mul_f32_dpp v134, v249, v134 quad_perm:[2,2,2,2] row_mask:0xf bank_mask:0xf// 000000008268: 0B0D0CFA FF00AAF9
	v_mul_f32_dpp v135, v249, v135 quad_perm:[3,3,3,3] row_mask:0xf bank_mask:0xf// 000000008270: 0B0F0EFA FF00FFF9
	v_mul_f32_dpp v136, v250, v136 quad_perm:[0,0,0,0] row_mask:0xf bank_mask:0xf// 000000008278: 0B1110FA FF0000FA
	v_mul_f32_dpp v137, v250, v137 quad_perm:[1,1,1,1] row_mask:0xf bank_mask:0xf// 000000008280: 0B1312FA FF0055FA
	v_mul_f32_dpp v138, v250, v138 quad_perm:[2,2,2,2] row_mask:0xf bank_mask:0xf// 000000008288: 0B1514FA FF00AAFA
	v_mul_f32_dpp v139, v250, v139 quad_perm:[3,3,3,3] row_mask:0xf bank_mask:0xf// 000000008290: 0B1716FA FF00FFFA
	v_mul_f32_dpp v140, v251, v140 quad_perm:[0,0,0,0] row_mask:0xf bank_mask:0xf// 000000008298: 0B1918FA FF0000FB
	v_mul_f32_dpp v141, v251, v141 quad_perm:[1,1,1,1] row_mask:0xf bank_mask:0xf// 0000000082A0: 0B1B1AFA FF0055FB
	v_mul_f32_dpp v142, v251, v142 quad_perm:[2,2,2,2] row_mask:0xf bank_mask:0xf// 0000000082A8: 0B1D1CFA FF00AAFB
	v_mul_f32_dpp v143, v251, v143 quad_perm:[3,3,3,3] row_mask:0xf bank_mask:0xf// 0000000082B0: 0B1F1EFA FF00FFFB
	buffer_load_dwordx4 a[20:23], v27, s[16:19], 0 offen offset:1024// 0000000082B8: E05C1400 8084141B
	v_mov_b32_e32 v62, v128                                    // 0000000082C0: 7E7C0380
	v_max3_f32 v62, v128, v129, v62                            // 0000000082C4: D1D3003E 04FB0380
	v_max3_f32 v62, v130, v131, v62                            // 0000000082CC: D1D3003E 04FB0782
	v_max3_f32 v62, v132, v133, v62                            // 0000000082D4: D1D3003E 04FB0B84
	v_max3_f32 v62, v134, v135, v62                            // 0000000082DC: D1D3003E 04FB0F86
	v_max3_f32 v62, v136, v137, v62                            // 0000000082E4: D1D3003E 04FB1388
	v_max3_f32 v62, v138, v139, v62                            // 0000000082EC: D1D3003E 04FB178A
	v_max3_f32 v62, v140, v141, v62                            // 0000000082F4: D1D3003E 04FB1B8C
	v_max3_f32 v62, v142, v143, v62                            // 0000000082FC: D1D3003E 04FB1F8E
	ds_write_b32 v11, v62 offset:16896                         // 000000008304: D81A4200 00003E0B
	buffer_load_dwordx4 a[24:27], v28, s[16:19], 0 offen       // 00000000830C: E05C1000 8084181C
	v_mul_u32_u24_dpp v41, v19, v68 row_newbcast:1 row_mask:0xf bank_mask:0xf// 000000008314: 105288FA FF015113
	v_mul_u32_u24_dpp v42, v19, v68 row_newbcast:5 row_mask:0xf bank_mask:0xf// 00000000831C: 105488FA FF015513
	v_mul_u32_u24_dpp v43, v19, v68 row_newbcast:9 row_mask:0xf bank_mask:0xf// 000000008324: 105688FA FF015913
	v_mul_u32_u24_dpp v44, v19, v68 row_newbcast:13 row_mask:0xf bank_mask:0xf// 00000000832C: 105888FA FF015D13
	v_add_u32_e32 v33, v41, v7                                 // 000000008334: 68420F29
	v_add_u32_e32 v34, v42, v7                                 // 000000008338: 68440F2A
	v_add_u32_e32 v35, v43, v7                                 // 00000000833C: 68460F2B
	v_add_u32_e32 v36, v44, v7                                 // 000000008340: 68480F2C
	v_mul_f32_e32 v224, v63, v224                              // 000000008344: 0BC1C13F
	v_mul_f32_e32 v225, v63, v225                              // 000000008348: 0BC3C33F
	v_mul_f32_e32 v226, v63, v226                              // 00000000834C: 0BC5C53F
	v_mul_f32_e32 v227, v63, v227                              // 000000008350: 0BC7C73F
	v_mul_f32_e32 v228, v63, v228                              // 000000008354: 0BC9C93F
	v_mul_f32_e32 v229, v63, v229                              // 000000008358: 0BCBCB3F
	v_mul_f32_e32 v230, v63, v230                              // 00000000835C: 0BCDCD3F
	v_mul_f32_e32 v231, v63, v231                              // 000000008360: 0BCFCF3F
	s_waitcnt lgkmcnt(0)                                       // 000000008364: BF8CC07F
	s_barrier                                                  // 000000008368: BF8A0000
	ds_read_b32 v80, v10 offset:16896                          // 00000000836C: D86C4200 5000000A
	ds_read_b32 v81, v10 offset:16960                          // 000000008374: D86C4240 5100000A
	ds_read_b32 v82, v10 offset:17024                          // 00000000837C: D86C4280 5200000A
	ds_read_b32 v83, v10 offset:17088                          // 000000008384: D86C42C0 5300000A
	ds_read_b32 v84, v10 offset:17152                          // 00000000838C: D86C4300 5400000A
	ds_read_b32 v85, v10 offset:17216                          // 000000008394: D86C4340 5500000A
	ds_read_b32 v86, v10 offset:17280                          // 00000000839C: D86C4380 5600000A
	ds_read_b32 v87, v10 offset:17344                          // 0000000083A4: D86C43C0 5700000A
	ds_read_b32 v88, v10 offset:17408                          // 0000000083AC: D86C4400 5800000A
	ds_read_b32 v89, v10 offset:17472                          // 0000000083B4: D86C4440 5900000A
	ds_read_b32 v90, v10 offset:17536                          // 0000000083BC: D86C4480 5A00000A
	ds_read_b32 v91, v10 offset:17600                          // 0000000083C4: D86C44C0 5B00000A
	ds_read_b32 v92, v10 offset:17664                          // 0000000083CC: D86C4500 5C00000A
	ds_read_b32 v93, v10 offset:17728                          // 0000000083D4: D86C4540 5D00000A
	ds_read_b32 v94, v10 offset:17792                          // 0000000083DC: D86C4580 5E00000A
	ds_read_b32 v95, v10 offset:17856                          // 0000000083E4: D86C45C0 5F00000A
	buffer_load_dwordx4 a[28:31], v28, s[16:19], 0 offen offset:1024// 0000000083EC: E05C1400 80841C1C
	v_cvt_f32_i32_e32 v192, v192                               // 0000000083F4: 7F800BC0
	v_cvt_f32_i32_e32 v193, v193                               // 0000000083F8: 7F820BC1
	v_cvt_f32_i32_e32 v194, v194                               // 0000000083FC: 7F840BC2
	v_cvt_f32_i32_e32 v195, v195                               // 000000008400: 7F860BC3
	v_cvt_f32_i32_e32 v196, v196                               // 000000008404: 7F880BC4
	v_cvt_f32_i32_e32 v197, v197                               // 000000008408: 7F8A0BC5
	v_cvt_f32_i32_e32 v198, v198                               // 00000000840C: 7F8C0BC6
	v_cvt_f32_i32_e32 v199, v199                               // 000000008410: 7F8E0BC7
	v_mul_f32_e32 v192, v58, v192                              // 000000008414: 0B81813A
	v_mul_f32_e32 v193, v58, v193                              // 000000008418: 0B83833A
	v_mul_f32_e32 v194, v58, v194                              // 00000000841C: 0B85853A
	v_mul_f32_e32 v195, v58, v195                              // 000000008420: 0B87873A
	v_mul_f32_e32 v196, v58, v196                              // 000000008424: 0B89893A
	v_mul_f32_e32 v197, v58, v197                              // 000000008428: 0B8B8B3A
	v_mul_f32_e32 v198, v58, v198                              // 00000000842C: 0B8D8D3A
	v_mul_f32_e32 v199, v58, v199                              // 000000008430: 0B8F8F3A
	s_waitcnt lgkmcnt(0)                                       // 000000008434: BF8CC07F
	v_max3_f32 v62, v80, v81, v62                              // 000000008438: D1D3003E 04FAA350
	v_max3_f32 v62, v82, v83, v62                              // 000000008440: D1D3003E 04FAA752
	v_max3_f32 v62, v84, v85, v62                              // 000000008448: D1D3003E 04FAAB54
	v_max3_f32 v62, v86, v87, v62                              // 000000008450: D1D3003E 04FAAF56
	v_max3_f32 v62, v88, v89, v62                              // 000000008458: D1D3003E 04FAB358
	v_max3_f32 v62, v90, v91, v62                              // 000000008460: D1D3003E 04FAB75A
	v_max3_f32 v62, v92, v93, v62                              // 000000008468: D1D3003E 04FABB5C
	v_max3_f32 v62, v94, v95, v62                              // 000000008470: D1D3003E 04FABF5E
	buffer_load_dwordx4 a[64:67], v33, s[20:23], 0 offen       // 000000008478: E05C1000 80854021
	v_mov_b32_e32 v41, 0xff800000                              // 000000008480: 7E5202FF FF800000
	v_cmp_eq_u32_e64 s[40:41], v41, v14                        // 000000008488: D0CA0028 00021D29
	s_nop 1                                                    // 000000008490: BF800001
	v_max_f32_e32 v18, v62, v14                                // 000000008494: 16241D3E
	v_mul_f32_e32 v67, s64, v18                                // 000000008498: 0A862440
	v_fma_f32 v128, v128, s64, -v67                            // 00000000849C: D1CB0080 850C8180
	v_fma_f32 v129, v129, s64, -v67                            // 0000000084A4: D1CB0081 850C8181
	v_fma_f32 v130, v130, s64, -v67                            // 0000000084AC: D1CB0082 850C8182
	v_fma_f32 v131, v131, s64, -v67                            // 0000000084B4: D1CB0083 850C8183
	v_fma_f32 v132, v132, s64, -v67                            // 0000000084BC: D1CB0084 850C8184
	v_fma_f32 v133, v133, s64, -v67                            // 0000000084C4: D1CB0085 850C8185
	v_fma_f32 v134, v134, s64, -v67                            // 0000000084CC: D1CB0086 850C8186
	v_fma_f32 v135, v135, s64, -v67                            // 0000000084D4: D1CB0087 850C8187
	v_fma_f32 v136, v136, s64, -v67                            // 0000000084DC: D1CB0088 850C8188
	v_fma_f32 v137, v137, s64, -v67                            // 0000000084E4: D1CB0089 850C8189
	v_fma_f32 v138, v138, s64, -v67                            // 0000000084EC: D1CB008A 850C818A
	v_fma_f32 v139, v139, s64, -v67                            // 0000000084F4: D1CB008B 850C818B
	v_fma_f32 v140, v140, s64, -v67                            // 0000000084FC: D1CB008C 850C818C
	v_fma_f32 v141, v141, s64, -v67                            // 000000008504: D1CB008D 850C818D
	v_fma_f32 v142, v142, s64, -v67                            // 00000000850C: D1CB008E 850C818E
	v_fma_f32 v143, v143, s64, -v67                            // 000000008514: D1CB008F 850C818F
	buffer_load_dwordx4 a[68:71], v34, s[20:23], 0 offen       // 00000000851C: E05C1000 80854422
	v_exp_f32_e32 v128, v128                                   // 000000008524: 7F004180
	v_exp_f32_e32 v129, v129                                   // 000000008528: 7F024181
	v_exp_f32_e32 v130, v130                                   // 00000000852C: 7F044182
	v_exp_f32_e32 v131, v131                                   // 000000008530: 7F064183
	v_exp_f32_e32 v132, v132                                   // 000000008534: 7F084184
	v_exp_f32_e32 v133, v133                                   // 000000008538: 7F0A4185
	v_exp_f32_e32 v134, v134                                   // 00000000853C: 7F0C4186
	v_exp_f32_e32 v135, v135                                   // 000000008540: 7F0E4187
	v_exp_f32_e32 v136, v136                                   // 000000008544: 7F104188
	v_exp_f32_e32 v137, v137                                   // 000000008548: 7F124189
	v_exp_f32_e32 v138, v138                                   // 00000000854C: 7F14418A
	v_exp_f32_e32 v139, v139                                   // 000000008550: 7F16418B
	v_exp_f32_e32 v140, v140                                   // 000000008554: 7F18418C
	v_exp_f32_e32 v141, v141                                   // 000000008558: 7F1A418D
	v_exp_f32_e32 v142, v142                                   // 00000000855C: 7F1C418E
	v_exp_f32_e32 v143, v143                                   // 000000008560: 7F1E418F
	buffer_load_dwordx4 a[72:75], v35, s[20:23], 0 offen       // 000000008564: E05C1000 80854823
	v_mul_f32_dpp v240, v252, v128 quad_perm:[0,0,0,0] row_mask:0xf bank_mask:0xf// 00000000856C: 0BE100FA FF0000FC
	v_mul_f32_dpp v241, v252, v129 quad_perm:[1,1,1,1] row_mask:0xf bank_mask:0xf// 000000008574: 0BE302FA FF0055FC
	v_mul_f32_dpp v242, v252, v130 quad_perm:[2,2,2,2] row_mask:0xf bank_mask:0xf// 00000000857C: 0BE504FA FF00AAFC
	v_mul_f32_dpp v243, v252, v131 quad_perm:[3,3,3,3] row_mask:0xf bank_mask:0xf// 000000008584: 0BE706FA FF00FFFC
	v_mul_f32_dpp v244, v253, v132 quad_perm:[0,0,0,0] row_mask:0xf bank_mask:0xf// 00000000858C: 0BE908FA FF0000FD
	v_mul_f32_dpp v245, v253, v133 quad_perm:[1,1,1,1] row_mask:0xf bank_mask:0xf// 000000008594: 0BEB0AFA FF0055FD
	v_mul_f32_dpp v246, v253, v134 quad_perm:[2,2,2,2] row_mask:0xf bank_mask:0xf// 00000000859C: 0BED0CFA FF00AAFD
	v_mul_f32_dpp v247, v253, v135 quad_perm:[3,3,3,3] row_mask:0xf bank_mask:0xf// 0000000085A4: 0BEF0EFA FF00FFFD
	v_mul_f32_dpp v248, v254, v136 quad_perm:[0,0,0,0] row_mask:0xf bank_mask:0xf// 0000000085AC: 0BF110FA FF0000FE
	v_mul_f32_dpp v249, v254, v137 quad_perm:[1,1,1,1] row_mask:0xf bank_mask:0xf// 0000000085B4: 0BF312FA FF0055FE
	v_mul_f32_dpp v250, v254, v138 quad_perm:[2,2,2,2] row_mask:0xf bank_mask:0xf// 0000000085BC: 0BF514FA FF00AAFE
	v_mul_f32_dpp v251, v254, v139 quad_perm:[3,3,3,3] row_mask:0xf bank_mask:0xf// 0000000085C4: 0BF716FA FF00FFFE
	v_mul_f32_dpp v252, v255, v140 quad_perm:[0,0,0,0] row_mask:0xf bank_mask:0xf// 0000000085CC: 0BF918FA FF0000FF
	v_mul_f32_dpp v253, v255, v141 quad_perm:[1,1,1,1] row_mask:0xf bank_mask:0xf// 0000000085D4: 0BFB1AFA FF0055FF
	v_mul_f32_dpp v254, v255, v142 quad_perm:[2,2,2,2] row_mask:0xf bank_mask:0xf// 0000000085DC: 0BFD1CFA FF00AAFF
	v_mul_f32_dpp v255, v255, v143 quad_perm:[3,3,3,3] row_mask:0xf bank_mask:0xf// 0000000085E4: 0BFF1EFA FF00FFFF
	v_mov_b32_e32 v62, 0x358637bd                              // 0000000085EC: 7E7C02FF 358637BD
	v_max3_f32 v62, |v240|, |v241|, v62                        // 0000000085F4: D1D3033E 04FBE3F0
	v_max3_f32 v62, |v242|, |v243|, v62                        // 0000000085FC: D1D3033E 04FBE7F2
	v_max3_f32 v62, |v244|, |v245|, v62                        // 000000008604: D1D3033E 04FBEBF4
	v_max3_f32 v62, |v246|, |v247|, v62                        // 00000000860C: D1D3033E 04FBEFF6
	v_max3_f32 v62, |v248|, |v249|, v62                        // 000000008614: D1D3033E 04FBF3F8
	v_max3_f32 v62, |v250|, |v251|, v62                        // 00000000861C: D1D3033E 04FBF7FA
	v_max3_f32 v62, |v252|, |v253|, v62                        // 000000008624: D1D3033E 04FBFBFC
	v_max3_f32 v62, |v254|, |v255|, v62                        // 00000000862C: D1D3033E 04FBFFFE
	buffer_load_dwordx4 a[76:79], v36, s[20:23], 0 offen       // 000000008634: E05C1000 80854C24
	ds_write_b32 v11, v62 offset:20992                         // 00000000863C: D81A5200 00003E0B
	v_sub_f32_e32 v63, v14, v18                                // 000000008644: 047E250E
	v_cndmask_b32_e64 v63, v63, 0, s[40:41]                    // 000000008648: D100003F 00A1013F
	v_mov_b32_e32 v14, v18                                     // 000000008650: 7E1C0312
	v_mul_f32_e32 v63, s64, v63                                // 000000008654: 0A7E7E40
	v_exp_f32_e32 v63, v63                                     // 000000008658: 7E7E413F
	s_waitcnt lgkmcnt(0)                                       // 00000000865C: BF8CC07F
	s_barrier                                                  // 000000008660: BF8A0000
	ds_read_b32 v80, v10 offset:20992                          // 000000008664: D86C5200 5000000A
	ds_read_b32 v81, v10 offset:21056                          // 00000000866C: D86C5240 5100000A
	ds_read_b32 v82, v10 offset:21120                          // 000000008674: D86C5280 5200000A
	ds_read_b32 v83, v10 offset:21184                          // 00000000867C: D86C52C0 5300000A
	ds_read_b32 v84, v10 offset:21248                          // 000000008684: D86C5300 5400000A
	ds_read_b32 v85, v10 offset:21312                          // 00000000868C: D86C5340 5500000A
	ds_read_b32 v86, v10 offset:21376                          // 000000008694: D86C5380 5600000A
	ds_read_b32 v87, v10 offset:21440                          // 00000000869C: D86C53C0 5700000A
	ds_read_b32 v88, v10 offset:21504                          // 0000000086A4: D86C5400 5800000A
	ds_read_b32 v89, v10 offset:21568                          // 0000000086AC: D86C5440 5900000A
	ds_read_b32 v90, v10 offset:21632                          // 0000000086B4: D86C5480 5A00000A
	ds_read_b32 v91, v10 offset:21696                          // 0000000086BC: D86C54C0 5B00000A
	ds_read_b32 v92, v10 offset:21760                          // 0000000086C4: D86C5500 5C00000A
	ds_read_b32 v93, v10 offset:21824                          // 0000000086CC: D86C5540 5D00000A
	ds_read_b32 v94, v10 offset:21888                          // 0000000086D4: D86C5580 5E00000A
	ds_read_b32 v95, v10 offset:21952                          // 0000000086DC: D86C55C0 5F00000A
	v_mul_f32_e32 v47, v63, v47                                // 0000000086E4: 0A5E5F3F
	v_mov_b32_e32 v18, v128                                    // 0000000086E8: 7E240380
	v_add_f32_e32 v18, v129, v18                               // 0000000086EC: 02242581
	v_add_f32_e32 v18, v130, v18                               // 0000000086F0: 02242582
	v_add_f32_e32 v18, v131, v18                               // 0000000086F4: 02242583
	v_add_f32_e32 v18, v132, v18                               // 0000000086F8: 02242584
	v_add_f32_e32 v18, v133, v18                               // 0000000086FC: 02242585
	v_add_f32_e32 v18, v134, v18                               // 000000008700: 02242586
	v_add_f32_e32 v18, v135, v18                               // 000000008704: 02242587
	;; [unrolled: 1-line block ×3, first 2 shown]
	v_add_f32_e32 v18, v137, v18                               // 00000000870C: 02242589
	v_add_f32_e32 v18, v138, v18                               // 000000008710: 0224258A
	v_add_f32_e32 v18, v139, v18                               // 000000008714: 0224258B
	v_add_f32_e32 v18, v140, v18                               // 000000008718: 0224258C
	v_add_f32_e32 v18, v141, v18                               // 00000000871C: 0224258D
	v_add_f32_e32 v18, v142, v18                               // 000000008720: 0224258E
	v_add_f32_e32 v18, v143, v18                               // 000000008724: 0224258F
	v_add_f32_e32 v47, v18, v47                                // 000000008728: 025E5F12
	s_waitcnt lgkmcnt(0)                                       // 00000000872C: BF8CC07F
	v_max3_f32 v62, |v80|, |v81|, v62                          // 000000008730: D1D3033E 04FAA350
	v_max3_f32 v62, |v82|, |v83|, v62                          // 000000008738: D1D3033E 04FAA752
	v_max3_f32 v62, |v84|, |v85|, v62                          // 000000008740: D1D3033E 04FAAB54
	v_max3_f32 v62, |v86|, |v87|, v62                          // 000000008748: D1D3033E 04FAAF56
	v_max3_f32 v62, |v88|, |v89|, v62                          // 000000008750: D1D3033E 04FAB358
	v_max3_f32 v62, |v90|, |v91|, v62                          // 000000008758: D1D3033E 04FAB75A
	v_max3_f32 v62, |v92|, |v93|, v62                          // 000000008760: D1D3033E 04FABB5C
	v_max3_f32 v62, |v94|, |v95|, v62                          // 000000008768: D1D3033E 04FABF5E
	s_nop 2                                                    // 000000008770: BF800002
	v_rcp_f32_e32 v62, v62                                     // 000000008774: 7E7C453E
	s_nop 1                                                    // 000000008778: BF800001
	v_mul_f32_e32 v62, 0x42fe0000, v62                         // 00000000877C: 0A7C7CFF 42FE0000
	v_mul_f32_e32 v128, v62, v240                              // 000000008784: 0B01E13E
	v_mul_f32_e32 v129, v62, v241                              // 000000008788: 0B03E33E
	v_mul_f32_e32 v130, v62, v242                              // 00000000878C: 0B05E53E
	v_mul_f32_e32 v131, v62, v243                              // 000000008790: 0B07E73E
	v_mul_f32_e32 v132, v62, v244                              // 000000008794: 0B09E93E
	v_mul_f32_e32 v133, v62, v245                              // 000000008798: 0B0BEB3E
	v_mul_f32_e32 v134, v62, v246                              // 00000000879C: 0B0DED3E
	v_mul_f32_e32 v135, v62, v247                              // 0000000087A0: 0B0FEF3E
	v_mul_f32_e32 v136, v62, v248                              // 0000000087A4: 0B11F13E
	v_mul_f32_e32 v137, v62, v249                              // 0000000087A8: 0B13F33E
	v_mul_f32_e32 v138, v62, v250                              // 0000000087AC: 0B15F53E
	v_mul_f32_e32 v139, v62, v251                              // 0000000087B0: 0B17F73E
	v_mul_f32_e32 v140, v62, v252                              // 0000000087B4: 0B19F93E
	v_mul_f32_e32 v141, v62, v253                              // 0000000087B8: 0B1BFB3E
	v_mul_f32_e32 v142, v62, v254                              // 0000000087BC: 0B1DFD3E
	v_mul_f32_e32 v143, v62, v255                              // 0000000087C0: 0B1FFF3E
	v_cvt_i32_f32_e32 v128, v128                               // 0000000087C4: 7F001180
	v_cvt_i32_f32_e32 v129, v129                               // 0000000087C8: 7F021181
	v_cvt_i32_f32_e32 v130, v130                               // 0000000087CC: 7F041182
	v_cvt_i32_f32_e32 v131, v131                               // 0000000087D0: 7F061183
	v_cvt_i32_f32_e32 v132, v132                               // 0000000087D4: 7F081184
	v_cvt_i32_f32_e32 v133, v133                               // 0000000087D8: 7F0A1185
	v_cvt_i32_f32_e32 v134, v134                               // 0000000087DC: 7F0C1186
	v_cvt_i32_f32_e32 v135, v135                               // 0000000087E0: 7F0E1187
	v_cvt_i32_f32_e32 v136, v136                               // 0000000087E4: 7F101188
	v_cvt_i32_f32_e32 v137, v137                               // 0000000087E8: 7F121189
	v_cvt_i32_f32_e32 v138, v138                               // 0000000087EC: 7F14118A
	v_cvt_i32_f32_e32 v139, v139                               // 0000000087F0: 7F16118B
	v_cvt_i32_f32_e32 v140, v140                               // 0000000087F4: 7F18118C
	v_cvt_i32_f32_e32 v141, v141                               // 0000000087F8: 7F1A118D
	v_cvt_i32_f32_e32 v142, v142                               // 0000000087FC: 7F1C118E
	v_cvt_i32_f32_e32 v143, v143                               // 000000008800: 7F1E118F
	v_perm_b32 v128, v129, v128, s53                           // 000000008804: D1ED0080 00D70181
	v_perm_b32 v128, v130, v128, s54                           // 00000000880C: D1ED0080 00DB0182
	v_perm_b32 v128, v131, v128, s55                           // 000000008814: D1ED0080 00DF0183
	v_perm_b32 v129, v133, v132, s53                           // 00000000881C: D1ED0081 00D70985
	v_perm_b32 v129, v134, v129, s54                           // 000000008824: D1ED0081 00DB0386
	v_perm_b32 v129, v135, v129, s55                           // 00000000882C: D1ED0081 00DF0387
	v_perm_b32 v130, v137, v136, s53                           // 000000008834: D1ED0082 00D71189
	v_perm_b32 v130, v138, v130, s54                           // 00000000883C: D1ED0082 00DB058A
	v_perm_b32 v130, v139, v130, s55                           // 000000008844: D1ED0082 00DF058B
	v_perm_b32 v131, v141, v140, s53                           // 00000000884C: D1ED0083 00D7198D
	v_perm_b32 v131, v142, v131, s54                           // 000000008854: D1ED0083 00DB078E
	v_perm_b32 v131, v143, v131, s55                           // 00000000885C: D1ED0083 00DF078F
	ds_write_b32 v13, v128 offset:25088                        // 000000008864: D81A6200 0000800D
	ds_write_b32 v13, v129 offset:26112                        // 00000000886C: D81A6600 0000810D
	ds_write_b32 v13, v130 offset:27136                        // 000000008874: D81A6A00 0000820D
	ds_write_b32 v13, v131 offset:28160                        // 00000000887C: D81A6E00 0000830D
	v_add_f32_e32 v224, v224, v192                             // 000000008884: 03C181E0
	v_add_f32_e32 v225, v225, v193                             // 000000008888: 03C383E1
	v_add_f32_e32 v226, v226, v194                             // 00000000888C: 03C585E2
	v_add_f32_e32 v227, v227, v195                             // 000000008890: 03C787E3
	v_add_f32_e32 v228, v228, v196                             // 000000008894: 03C989E4
	v_add_f32_e32 v229, v229, v197                             // 000000008898: 03CB8BE5
	v_add_f32_e32 v230, v230, v198                             // 00000000889C: 03CD8DE6
	v_add_f32_e32 v231, v231, v199                             // 0000000088A0: 03CF8FE7
	v_rcp_f32_e32 v58, v62                                     // 0000000088A4: 7E74453E
	s_waitcnt lgkmcnt(0)                                       // 0000000088A8: BF8CC07F
	s_barrier                                                  // 0000000088AC: BF8A0000
	ds_read_b64 v[128:129], v12 offset:25088                   // 0000000088B0: D8EC6200 8000000C
	ds_read_b64 v[130:131], v12 offset:25216                   // 0000000088B8: D8EC6280 8200000C
	ds_read_b64 v[132:133], v12 offset:26112                   // 0000000088C0: D8EC6600 8400000C
	ds_read_b64 v[134:135], v12 offset:26240                   // 0000000088C8: D8EC6680 8600000C
	ds_read_b64 v[136:137], v12 offset:27136                   // 0000000088D0: D8EC6A00 8800000C
	ds_read_b64 v[138:139], v12 offset:27264                   // 0000000088D8: D8EC6A80 8A00000C
	ds_read_b64 v[140:141], v12 offset:28160                   // 0000000088E0: D8EC6E00 8C00000C
	ds_read_b64 v[142:143], v12 offset:28288                   // 0000000088E8: D8EC6E80 8E00000C
	s_waitcnt vmcnt(15)                                        // 0000000088F0: BF8C0F7F
	s_waitcnt lgkmcnt(7)                                       // 0000000088F4: BF8CC77F
	v_mfma_i32_16x16x32_i8 v[192:195], a[96:97], v[128:129], 0 // 0000000088F8: D3D700C0 0A030160
	buffer_load_dwordx4 a[80:83], v33, s[20:23], 0 offen offset:1024// 000000008900: E05C1400 80855021
	s_waitcnt lgkmcnt(6)                                       // 000000008908: BF8CC67F
	v_mfma_i32_16x16x32_i8 v[192:195], a[98:99], v[130:131], v[192:195]// 00000000890C: D3D700C0 0F030562
	s_waitcnt lgkmcnt(5)                                       // 000000008914: BF8CC57F
	v_mfma_i32_16x16x32_i8 v[192:195], a[100:101], v[132:133], v[192:195]// 000000008918: D3D700C0 0F030964
	s_waitcnt lgkmcnt(4)                                       // 000000008920: BF8CC47F
	v_mfma_i32_16x16x32_i8 v[192:195], a[102:103], v[134:135], v[192:195]// 000000008924: D3D700C0 0F030D66
	s_waitcnt lgkmcnt(3)                                       // 00000000892C: BF8CC37F
	v_mfma_i32_16x16x32_i8 v[192:195], a[104:105], v[136:137], v[192:195]// 000000008930: D3D700C0 0F031168
	buffer_load_dwordx4 a[84:87], v34, s[20:23], 0 offen offset:1024// 000000008938: E05C1400 80855422
	s_waitcnt lgkmcnt(2)                                       // 000000008940: BF8CC27F
	v_mfma_i32_16x16x32_i8 v[192:195], a[106:107], v[138:139], v[192:195]// 000000008944: D3D700C0 0F03156A
	s_waitcnt lgkmcnt(1)                                       // 00000000894C: BF8CC17F
	v_mfma_i32_16x16x32_i8 v[192:195], a[108:109], v[140:141], v[192:195]// 000000008950: D3D700C0 0F03196C
	s_waitcnt lgkmcnt(0)                                       // 000000008958: BF8CC07F
	v_mfma_i32_16x16x32_i8 v[192:195], a[110:111], v[142:143], v[192:195]// 00000000895C: D3D700C0 0F031D6E
	v_mfma_i32_16x16x32_i8 v[196:199], a[112:113], v[128:129], 0// 000000008964: D3D700C4 0A030170
	buffer_load_dwordx4 a[88:91], v35, s[20:23], 0 offen offset:1024// 00000000896C: E05C1400 80855823
	v_mfma_i32_16x16x32_i8 v[196:199], a[114:115], v[130:131], v[196:199]// 000000008974: D3D700C4 0F130572
	v_mfma_i32_16x16x32_i8 v[196:199], a[116:117], v[132:133], v[196:199]// 00000000897C: D3D700C4 0F130974
	v_mfma_i32_16x16x32_i8 v[196:199], a[118:119], v[134:135], v[196:199]// 000000008984: D3D700C4 0F130D76
	v_mfma_i32_16x16x32_i8 v[196:199], a[120:121], v[136:137], v[196:199]// 00000000898C: D3D700C4 0F131178
	buffer_load_dwordx4 a[92:95], v36, s[20:23], 0 offen offset:1024// 000000008994: E05C1400 80855C24
	v_mfma_i32_16x16x32_i8 v[196:199], a[122:123], v[138:139], v[196:199]// 00000000899C: D3D700C4 0F13157A
	v_mfma_i32_16x16x32_i8 v[196:199], a[124:125], v[140:141], v[196:199]// 0000000089A4: D3D700C4 0F13197C
	s_lshr_b32 s57, s70, 4                                     // 0000000089AC: 8F398446
	s_add_u32 s57, 48, s57                                     // 0000000089B0: 803939B0
	v_mfma_i32_16x16x32_i8 v[196:199], a[126:127], v[142:143], v[196:199]// 0000000089B4: D3D700C4 0F131D7E
	s_cmp_ge_u32 s57, s73                                      // 0000000089BC: BF094939
	s_cselect_b32 s56, 0, s56                                  // 0000000089C0: 85383880
	v_add_u32_e32 v1, s56, v1                                  // 0000000089C4: 68020238
	s_addk_i32 s70, 0x100                                      // 0000000089C8: B7460100
	s_cmp_lt_i32 s70, s71                                      // 0000000089CC: BF044746
	s_cbranch_scc0 label_14F6                                  // 0000000089D0: BF84FB01
	s_branch label_14F9                                        // 0000000089D4: BF82FB03

00000000000089d8 <label_19F6>:
	s_lshr_b32 s60, s71, 4                                     // 0000000089D8: 8F3C8447
	s_cmp_eq_i32 s60, s73                                      // 0000000089DC: BF00493C
	s_cbranch_scc1 label_1F59                                  // 0000000089E0: BF850560
	s_lshr_b32 s60, s71, 8                                     // 0000000089E4: 8F3C8847
	s_and_b32 s60, s60, 1                                      // 0000000089E8: 863C813C
	s_cmp_eq_i32 s60, 1                                        // 0000000089EC: BF00813C
	s_cbranch_scc1 label_1CAB                                  // 0000000089F0: BF8502AE
	s_waitcnt vmcnt(8) lgkmcnt(0)                              // 0000000089F4: BF8C0078
	s_barrier                                                  // 0000000089F8: BF8A0000
	v_mfma_i32_16x16x32_i8 v[128:131], a[0:1], v[96:97], 0     // 0000000089FC: D3D70080 0A02C100
	v_mfma_i32_16x16x32_i8 v[128:131], a[2:3], v[98:99], v[128:131]// 000000008A04: D3D70080 0E02C502
	v_mfma_i32_16x16x32_i8 v[128:131], a[4:5], v[100:101], v[128:131]// 000000008A0C: D3D70080 0E02C904
	v_mfma_i32_16x16x32_i8 v[128:131], a[6:7], v[102:103], v[128:131]// 000000008A14: D3D70080 0E02CD06
	v_mfma_i32_16x16x32_i8 v[132:135], a[8:9], v[96:97], 0     // 000000008A1C: D3D70084 0A02C108
	v_mfma_i32_16x16x32_i8 v[132:135], a[10:11], v[98:99], v[132:135]// 000000008A24: D3D70084 0E12C50A
	v_mfma_i32_16x16x32_i8 v[132:135], a[12:13], v[100:101], v[132:135]// 000000008A2C: D3D70084 0E12C90C
	v_mfma_i32_16x16x32_i8 v[132:135], a[14:15], v[102:103], v[132:135]// 000000008A34: D3D70084 0E12CD0E
	v_mfma_i32_16x16x32_i8 v[136:139], a[16:17], v[96:97], 0   // 000000008A3C: D3D70088 0A02C110
	v_mfma_i32_16x16x32_i8 v[136:139], a[18:19], v[98:99], v[136:139]// 000000008A44: D3D70088 0E22C512
	v_mfma_i32_16x16x32_i8 v[136:139], a[20:21], v[100:101], v[136:139]// 000000008A4C: D3D70088 0E22C914
	v_mfma_i32_16x16x32_i8 v[136:139], a[22:23], v[102:103], v[136:139]// 000000008A54: D3D70088 0E22CD16
	v_mfma_i32_16x16x32_i8 v[140:143], a[24:25], v[96:97], 0   // 000000008A5C: D3D7008C 0A02C118
	v_mfma_i32_16x16x32_i8 v[140:143], a[26:27], v[98:99], v[140:143]// 000000008A64: D3D7008C 0E32C51A
	v_mfma_i32_16x16x32_i8 v[140:143], a[28:29], v[100:101], v[140:143]// 000000008A6C: D3D7008C 0E32C91C
	v_mfma_i32_16x16x32_i8 v[140:143], a[30:31], v[102:103], v[140:143]// 000000008A74: D3D7008C 0E32CD1E
	v_mov_b32_dpp v41, v52 row_shr:4 row_mask:0xf bank_mask:0xf// 000000008A7C: 7E5202FA FF011434
	v_mov_b32_dpp v42, v52 row_shl:4 row_mask:0xf bank_mask:0xf// 000000008A84: 7E5402FA FF010434
	v_cndmask_b32_e64 v248, v52, v41, s[44:45]                 // 000000008A8C: D10000F8 00B25334
	v_cndmask_b32_e64 v249, v42, v52, s[44:45]                 // 000000008A94: D10000F9 00B2692A
	v_mov_b32_dpp v41, v248 row_shr:8 row_mask:0xf bank_mask:0xf// 000000008A9C: 7E5202FA FF0118F8
	v_mov_b32_dpp v42, v248 row_shl:8 row_mask:0xf bank_mask:0xf// 000000008AA4: 7E5402FA FF0108F8
	v_mov_b32_dpp v43, v249 row_shr:8 row_mask:0xf bank_mask:0xf// 000000008AAC: 7E5602FA FF0118F9
	v_mov_b32_dpp v44, v249 row_shl:8 row_mask:0xf bank_mask:0xf// 000000008AB4: 7E5802FA FF0108F9
	v_mov_b32_e32 v45, v248                                    // 000000008ABC: 7E5A03F8
	v_mov_b32_e32 v46, v249                                    // 000000008AC0: 7E5C03F9
	v_cndmask_b32_e64 v248, v45, v41, s[42:43]                 // 000000008AC4: D10000F8 00AA532D
	v_cndmask_b32_e64 v250, v45, v42, s[78:79]                 // 000000008ACC: D10000FA 013A552D
	v_cndmask_b32_e64 v249, v46, v43, s[42:43]                 // 000000008AD4: D10000F9 00AA572E
	v_cndmask_b32_e64 v251, v46, v44, s[78:79]                 // 000000008ADC: D10000FB 013A592E
	v_mov_b32_dpp v41, v72 row_shr:4 row_mask:0xf bank_mask:0xf// 000000008AE4: 7E5202FA FF011448
	v_mov_b32_dpp v42, v72 row_shl:4 row_mask:0xf bank_mask:0xf// 000000008AEC: 7E5402FA FF010448
	v_cndmask_b32_e64 v252, v72, v41, s[44:45]                 // 000000008AF4: D10000FC 00B25348
	v_cndmask_b32_e64 v253, v42, v72, s[44:45]                 // 000000008AFC: D10000FD 00B2912A
	v_mov_b32_dpp v41, v252 row_shr:8 row_mask:0xf bank_mask:0xf// 000000008B04: 7E5202FA FF0118FC
	v_mov_b32_dpp v42, v252 row_shl:8 row_mask:0xf bank_mask:0xf// 000000008B0C: 7E5402FA FF0108FC
	v_mov_b32_dpp v43, v253 row_shr:8 row_mask:0xf bank_mask:0xf// 000000008B14: 7E5602FA FF0118FD
	v_mov_b32_dpp v44, v253 row_shl:8 row_mask:0xf bank_mask:0xf// 000000008B1C: 7E5802FA FF0108FD
	v_mov_b32_e32 v45, v252                                    // 000000008B24: 7E5A03FC
	v_mov_b32_e32 v46, v253                                    // 000000008B28: 7E5C03FD
	v_cndmask_b32_e64 v252, v45, v41, s[42:43]                 // 000000008B2C: D10000FC 00AA532D
	v_cndmask_b32_e64 v254, v45, v42, s[78:79]                 // 000000008B34: D10000FE 013A552D
	v_cndmask_b32_e64 v253, v46, v43, s[42:43]                 // 000000008B3C: D10000FD 00AA572E
	v_cndmask_b32_e64 v255, v46, v44, s[78:79]                 // 000000008B44: D10000FF 013A592E
	v_cvt_f32_i32_e32 v128, v128                               // 000000008B4C: 7F000B80
	v_cvt_f32_i32_e32 v129, v129                               // 000000008B50: 7F020B81
	v_cvt_f32_i32_e32 v130, v130                               // 000000008B54: 7F040B82
	v_cvt_f32_i32_e32 v131, v131                               // 000000008B58: 7F060B83
	v_cvt_f32_i32_e32 v132, v132                               // 000000008B5C: 7F080B84
	v_cvt_f32_i32_e32 v133, v133                               // 000000008B60: 7F0A0B85
	v_cvt_f32_i32_e32 v134, v134                               // 000000008B64: 7F0C0B86
	v_cvt_f32_i32_e32 v135, v135                               // 000000008B68: 7F0E0B87
	v_cvt_f32_i32_e32 v136, v136                               // 000000008B6C: 7F100B88
	v_cvt_f32_i32_e32 v137, v137                               // 000000008B70: 7F120B89
	v_cvt_f32_i32_e32 v138, v138                               // 000000008B74: 7F140B8A
	v_cvt_f32_i32_e32 v139, v139                               // 000000008B78: 7F160B8B
	v_cvt_f32_i32_e32 v140, v140                               // 000000008B7C: 7F180B8C
	v_cvt_f32_i32_e32 v141, v141                               // 000000008B80: 7F1A0B8D
	v_cvt_f32_i32_e32 v142, v142                               // 000000008B84: 7F1C0B8E
	v_cvt_f32_i32_e32 v143, v143                               // 000000008B88: 7F1E0B8F
	v_mul_f32_e32 v128, v54, v128                              // 000000008B8C: 0B010136
	v_mul_f32_e32 v129, v54, v129                              // 000000008B90: 0B030336
	v_mul_f32_e32 v130, v54, v130                              // 000000008B94: 0B050536
	v_mul_f32_e32 v131, v54, v131                              // 000000008B98: 0B070736
	v_mul_f32_e32 v132, v54, v132                              // 000000008B9C: 0B090936
	v_mul_f32_e32 v133, v54, v133                              // 000000008BA0: 0B0B0B36
	v_mul_f32_e32 v134, v54, v134                              // 000000008BA4: 0B0D0D36
	v_mul_f32_e32 v135, v54, v135                              // 000000008BA8: 0B0F0F36
	v_mul_f32_e32 v136, v54, v136                              // 000000008BAC: 0B111136
	v_mul_f32_e32 v137, v54, v137                              // 000000008BB0: 0B131336
	v_mul_f32_e32 v138, v54, v138                              // 000000008BB4: 0B151536
	v_mul_f32_e32 v139, v54, v139                              // 000000008BB8: 0B171736
	v_mul_f32_e32 v140, v54, v140                              // 000000008BBC: 0B191936
	v_mul_f32_e32 v141, v54, v141                              // 000000008BC0: 0B1B1B36
	v_mul_f32_e32 v142, v54, v142                              // 000000008BC4: 0B1D1D36
	v_mul_f32_e32 v143, v54, v143                              // 000000008BC8: 0B1F1F36
	v_mul_f32_dpp v128, v248, v128 quad_perm:[0,0,0,0] row_mask:0xf bank_mask:0xf// 000000008BCC: 0B0100FA FF0000F8
	v_mul_f32_dpp v129, v248, v129 quad_perm:[1,1,1,1] row_mask:0xf bank_mask:0xf// 000000008BD4: 0B0302FA FF0055F8
	v_mul_f32_dpp v130, v248, v130 quad_perm:[2,2,2,2] row_mask:0xf bank_mask:0xf// 000000008BDC: 0B0504FA FF00AAF8
	v_mul_f32_dpp v131, v248, v131 quad_perm:[3,3,3,3] row_mask:0xf bank_mask:0xf// 000000008BE4: 0B0706FA FF00FFF8
	v_mul_f32_dpp v132, v249, v132 quad_perm:[0,0,0,0] row_mask:0xf bank_mask:0xf// 000000008BEC: 0B0908FA FF0000F9
	v_mul_f32_dpp v133, v249, v133 quad_perm:[1,1,1,1] row_mask:0xf bank_mask:0xf// 000000008BF4: 0B0B0AFA FF0055F9
	v_mul_f32_dpp v134, v249, v134 quad_perm:[2,2,2,2] row_mask:0xf bank_mask:0xf// 000000008BFC: 0B0D0CFA FF00AAF9
	v_mul_f32_dpp v135, v249, v135 quad_perm:[3,3,3,3] row_mask:0xf bank_mask:0xf// 000000008C04: 0B0F0EFA FF00FFF9
	v_mul_f32_dpp v136, v250, v136 quad_perm:[0,0,0,0] row_mask:0xf bank_mask:0xf// 000000008C0C: 0B1110FA FF0000FA
	v_mul_f32_dpp v137, v250, v137 quad_perm:[1,1,1,1] row_mask:0xf bank_mask:0xf// 000000008C14: 0B1312FA FF0055FA
	v_mul_f32_dpp v138, v250, v138 quad_perm:[2,2,2,2] row_mask:0xf bank_mask:0xf// 000000008C1C: 0B1514FA FF00AAFA
	v_mul_f32_dpp v139, v250, v139 quad_perm:[3,3,3,3] row_mask:0xf bank_mask:0xf// 000000008C24: 0B1716FA FF00FFFA
	v_mul_f32_dpp v140, v251, v140 quad_perm:[0,0,0,0] row_mask:0xf bank_mask:0xf// 000000008C2C: 0B1918FA FF0000FB
	v_mul_f32_dpp v141, v251, v141 quad_perm:[1,1,1,1] row_mask:0xf bank_mask:0xf// 000000008C34: 0B1B1AFA FF0055FB
	v_mul_f32_dpp v142, v251, v142 quad_perm:[2,2,2,2] row_mask:0xf bank_mask:0xf// 000000008C3C: 0B1D1CFA FF00AAFB
	v_mul_f32_dpp v143, v251, v143 quad_perm:[3,3,3,3] row_mask:0xf bank_mask:0xf// 000000008C44: 0B1F1EFA FF00FFFB
	s_and_b32 s60, s72, 0xff                                   // 000000008C4C: 863CFF48 000000FF
	v_mov_b32_e32 v42, s60                                     // 000000008C54: 7E54023C
	v_lshrrev_b32_e32 v240, 4, v0                              // 000000008C58: 21E00084
	v_mul_i32_i24_e32 v240, 4, v240                            // 000000008C5C: 0DE1E084
	s_mul_i32 s60, s7, 16                                      // 000000008C60: 923C9007
	v_add_u32_e32 v240, s60, v240                              // 000000008C64: 69E1E03C
	v_add_u32_e32 v241, 1, v240                                // 000000008C68: 69E3E081
	v_add_u32_e32 v242, 2, v240                                // 000000008C6C: 69E5E082
	v_add_u32_e32 v243, 3, v240                                // 000000008C70: 69E7E083
	v_mov_b32_e32 v41, 0xff800000                              // 000000008C74: 7E5202FF FF800000
	v_cmp_lt_u32_e64 s[40:41], v240, v42                       // 000000008C7C: D0C90028 000255F0
	v_add_u32_e32 v240, 64, v240                               // 000000008C84: 69E1E0C0
	s_nop 0                                                    // 000000008C88: BF800000
	v_cndmask_b32_e64 v128, v41, v128, s[40:41]                // 000000008C8C: D1000080 00A30129
	v_cmp_lt_u32_e64 s[40:41], v241, v42                       // 000000008C94: D0C90028 000255F1
	v_add_u32_e32 v241, 64, v241                               // 000000008C9C: 69E3E2C0
	s_nop 0                                                    // 000000008CA0: BF800000
	v_cndmask_b32_e64 v129, v41, v129, s[40:41]                // 000000008CA4: D1000081 00A30329
	v_cmp_lt_u32_e64 s[40:41], v242, v42                       // 000000008CAC: D0C90028 000255F2
	v_add_u32_e32 v242, 64, v242                               // 000000008CB4: 69E5E4C0
	s_nop 0                                                    // 000000008CB8: BF800000
	v_cndmask_b32_e64 v130, v41, v130, s[40:41]                // 000000008CBC: D1000082 00A30529
	v_cmp_lt_u32_e64 s[40:41], v243, v42                       // 000000008CC4: D0C90028 000255F3
	v_add_u32_e32 v243, 64, v243                               // 000000008CCC: 69E7E6C0
	s_nop 0                                                    // 000000008CD0: BF800000
	v_cndmask_b32_e64 v131, v41, v131, s[40:41]                // 000000008CD4: D1000083 00A30729
	v_cmp_lt_u32_e64 s[40:41], v240, v42                       // 000000008CDC: D0C90028 000255F0
	v_add_u32_e32 v240, 64, v240                               // 000000008CE4: 69E1E0C0
	s_nop 0                                                    // 000000008CE8: BF800000
	v_cndmask_b32_e64 v132, v41, v132, s[40:41]                // 000000008CEC: D1000084 00A30929
	v_cmp_lt_u32_e64 s[40:41], v241, v42                       // 000000008CF4: D0C90028 000255F1
	v_add_u32_e32 v241, 64, v241                               // 000000008CFC: 69E3E2C0
	s_nop 0                                                    // 000000008D00: BF800000
	v_cndmask_b32_e64 v133, v41, v133, s[40:41]                // 000000008D04: D1000085 00A30B29
	v_cmp_lt_u32_e64 s[40:41], v242, v42                       // 000000008D0C: D0C90028 000255F2
	v_add_u32_e32 v242, 64, v242                               // 000000008D14: 69E5E4C0
	s_nop 0                                                    // 000000008D18: BF800000
	v_cndmask_b32_e64 v134, v41, v134, s[40:41]                // 000000008D1C: D1000086 00A30D29
	v_cmp_lt_u32_e64 s[40:41], v243, v42                       // 000000008D24: D0C90028 000255F3
	v_add_u32_e32 v243, 64, v243                               // 000000008D2C: 69E7E6C0
	s_nop 0                                                    // 000000008D30: BF800000
	v_cndmask_b32_e64 v135, v41, v135, s[40:41]                // 000000008D34: D1000087 00A30F29
	v_cmp_lt_u32_e64 s[40:41], v240, v42                       // 000000008D3C: D0C90028 000255F0
	v_add_u32_e32 v240, 64, v240                               // 000000008D44: 69E1E0C0
	s_nop 0                                                    // 000000008D48: BF800000
	v_cndmask_b32_e64 v136, v41, v136, s[40:41]                // 000000008D4C: D1000088 00A31129
	v_cmp_lt_u32_e64 s[40:41], v241, v42                       // 000000008D54: D0C90028 000255F1
	v_add_u32_e32 v241, 64, v241                               // 000000008D5C: 69E3E2C0
	s_nop 0                                                    // 000000008D60: BF800000
	v_cndmask_b32_e64 v137, v41, v137, s[40:41]                // 000000008D64: D1000089 00A31329
	v_cmp_lt_u32_e64 s[40:41], v242, v42                       // 000000008D6C: D0C90028 000255F2
	v_add_u32_e32 v242, 64, v242                               // 000000008D74: 69E5E4C0
	s_nop 0                                                    // 000000008D78: BF800000
	v_cndmask_b32_e64 v138, v41, v138, s[40:41]                // 000000008D7C: D100008A 00A31529
	v_cmp_lt_u32_e64 s[40:41], v243, v42                       // 000000008D84: D0C90028 000255F3
	v_add_u32_e32 v243, 64, v243                               // 000000008D8C: 69E7E6C0
	s_nop 0                                                    // 000000008D90: BF800000
	v_cndmask_b32_e64 v139, v41, v139, s[40:41]                // 000000008D94: D100008B 00A31729
	v_cmp_lt_u32_e64 s[40:41], v240, v42                       // 000000008D9C: D0C90028 000255F0
	v_add_u32_e32 v240, 64, v240                               // 000000008DA4: 69E1E0C0
	s_nop 0                                                    // 000000008DA8: BF800000
	v_cndmask_b32_e64 v140, v41, v140, s[40:41]                // 000000008DAC: D100008C 00A31929
	v_cmp_lt_u32_e64 s[40:41], v241, v42                       // 000000008DB4: D0C90028 000255F1
	v_add_u32_e32 v241, 64, v241                               // 000000008DBC: 69E3E2C0
	s_nop 0                                                    // 000000008DC0: BF800000
	v_cndmask_b32_e64 v141, v41, v141, s[40:41]                // 000000008DC4: D100008D 00A31B29
	v_cmp_lt_u32_e64 s[40:41], v242, v42                       // 000000008DCC: D0C90028 000255F2
	v_add_u32_e32 v242, 64, v242                               // 000000008DD4: 69E5E4C0
	s_nop 0                                                    // 000000008DD8: BF800000
	v_cndmask_b32_e64 v142, v41, v142, s[40:41]                // 000000008DDC: D100008E 00A31D29
	v_cmp_lt_u32_e64 s[40:41], v243, v42                       // 000000008DE4: D0C90028 000255F3
	v_add_u32_e32 v243, 64, v243                               // 000000008DEC: 69E7E6C0
	s_nop 0                                                    // 000000008DF0: BF800000
	v_cndmask_b32_e64 v143, v41, v143, s[40:41]                // 000000008DF4: D100008F 00A31F29
	v_mov_b32_e32 v62, v128                                    // 000000008DFC: 7E7C0380
	v_max3_f32 v62, v128, v129, v62                            // 000000008E00: D1D3003E 04FB0380
	v_max3_f32 v62, v130, v131, v62                            // 000000008E08: D1D3003E 04FB0782
	v_max3_f32 v62, v132, v133, v62                            // 000000008E10: D1D3003E 04FB0B84
	v_max3_f32 v62, v134, v135, v62                            // 000000008E18: D1D3003E 04FB0F86
	v_max3_f32 v62, v136, v137, v62                            // 000000008E20: D1D3003E 04FB1388
	v_max3_f32 v62, v138, v139, v62                            // 000000008E28: D1D3003E 04FB178A
	v_max3_f32 v62, v140, v141, v62                            // 000000008E30: D1D3003E 04FB1B8C
	v_max3_f32 v62, v142, v143, v62                            // 000000008E38: D1D3003E 04FB1F8E
	ds_write_b32 v11, v62 offset:16896                         // 000000008E40: D81A4200 00003E0B
	v_mul_u32_u24_dpp v41, v20, v68 row_newbcast:1 row_mask:0xf bank_mask:0xf// 000000008E48: 105288FA FF015114
	v_mul_u32_u24_dpp v42, v20, v68 row_newbcast:5 row_mask:0xf bank_mask:0xf// 000000008E50: 105488FA FF015514
	v_mul_u32_u24_dpp v43, v20, v68 row_newbcast:9 row_mask:0xf bank_mask:0xf// 000000008E58: 105688FA FF015914
	v_mul_u32_u24_dpp v44, v20, v68 row_newbcast:13 row_mask:0xf bank_mask:0xf// 000000008E60: 105888FA FF015D14
	v_add_u32_e32 v37, v41, v7                                 // 000000008E68: 684A0F29
	v_add_u32_e32 v38, v42, v7                                 // 000000008E6C: 684C0F2A
	v_add_u32_e32 v39, v43, v7                                 // 000000008E70: 684E0F2B
	v_add_u32_e32 v40, v44, v7                                 // 000000008E74: 68500F2C
	v_mul_f32_e32 v224, v63, v224                              // 000000008E78: 0BC1C13F
	v_mul_f32_e32 v225, v63, v225                              // 000000008E7C: 0BC3C33F
	v_mul_f32_e32 v226, v63, v226                              // 000000008E80: 0BC5C53F
	v_mul_f32_e32 v227, v63, v227                              // 000000008E84: 0BC7C73F
	v_mul_f32_e32 v228, v63, v228                              // 000000008E88: 0BC9C93F
	v_mul_f32_e32 v229, v63, v229                              // 000000008E8C: 0BCBCB3F
	v_mul_f32_e32 v230, v63, v230                              // 000000008E90: 0BCDCD3F
	v_mul_f32_e32 v231, v63, v231                              // 000000008E94: 0BCFCF3F
	s_waitcnt lgkmcnt(0)                                       // 000000008E98: BF8CC07F
	s_barrier                                                  // 000000008E9C: BF8A0000
	ds_read_b32 v80, v10 offset:16896                          // 000000008EA0: D86C4200 5000000A
	ds_read_b32 v81, v10 offset:16960                          // 000000008EA8: D86C4240 5100000A
	ds_read_b32 v82, v10 offset:17024                          // 000000008EB0: D86C4280 5200000A
	ds_read_b32 v83, v10 offset:17088                          // 000000008EB8: D86C42C0 5300000A
	ds_read_b32 v84, v10 offset:17152                          // 000000008EC0: D86C4300 5400000A
	ds_read_b32 v85, v10 offset:17216                          // 000000008EC8: D86C4340 5500000A
	ds_read_b32 v86, v10 offset:17280                          // 000000008ED0: D86C4380 5600000A
	ds_read_b32 v87, v10 offset:17344                          // 000000008ED8: D86C43C0 5700000A
	ds_read_b32 v88, v10 offset:17408                          // 000000008EE0: D86C4400 5800000A
	ds_read_b32 v89, v10 offset:17472                          // 000000008EE8: D86C4440 5900000A
	ds_read_b32 v90, v10 offset:17536                          // 000000008EF0: D86C4480 5A00000A
	ds_read_b32 v91, v10 offset:17600                          // 000000008EF8: D86C44C0 5B00000A
	ds_read_b32 v92, v10 offset:17664                          // 000000008F00: D86C4500 5C00000A
	ds_read_b32 v93, v10 offset:17728                          // 000000008F08: D86C4540 5D00000A
	ds_read_b32 v94, v10 offset:17792                          // 000000008F10: D86C4580 5E00000A
	ds_read_b32 v95, v10 offset:17856                          // 000000008F18: D86C45C0 5F00000A
	v_cvt_f32_i32_e32 v192, v192                               // 000000008F20: 7F800BC0
	v_cvt_f32_i32_e32 v193, v193                               // 000000008F24: 7F820BC1
	v_cvt_f32_i32_e32 v194, v194                               // 000000008F28: 7F840BC2
	v_cvt_f32_i32_e32 v195, v195                               // 000000008F2C: 7F860BC3
	v_cvt_f32_i32_e32 v196, v196                               // 000000008F30: 7F880BC4
	v_cvt_f32_i32_e32 v197, v197                               // 000000008F34: 7F8A0BC5
	v_cvt_f32_i32_e32 v198, v198                               // 000000008F38: 7F8C0BC6
	v_cvt_f32_i32_e32 v199, v199                               // 000000008F3C: 7F8E0BC7
	v_mul_f32_e32 v192, v58, v192                              // 000000008F40: 0B81813A
	v_mul_f32_e32 v193, v58, v193                              // 000000008F44: 0B83833A
	v_mul_f32_e32 v194, v58, v194                              // 000000008F48: 0B85853A
	v_mul_f32_e32 v195, v58, v195                              // 000000008F4C: 0B87873A
	v_mul_f32_e32 v196, v58, v196                              // 000000008F50: 0B89893A
	v_mul_f32_e32 v197, v58, v197                              // 000000008F54: 0B8B8B3A
	v_mul_f32_e32 v198, v58, v198                              // 000000008F58: 0B8D8D3A
	v_mul_f32_e32 v199, v58, v199                              // 000000008F5C: 0B8F8F3A
	s_waitcnt lgkmcnt(0)                                       // 000000008F60: BF8CC07F
	v_max3_f32 v62, v80, v81, v62                              // 000000008F64: D1D3003E 04FAA350
	v_max3_f32 v62, v82, v83, v62                              // 000000008F6C: D1D3003E 04FAA752
	v_max3_f32 v62, v84, v85, v62                              // 000000008F74: D1D3003E 04FAAB54
	v_max3_f32 v62, v86, v87, v62                              // 000000008F7C: D1D3003E 04FAAF56
	v_max3_f32 v62, v88, v89, v62                              // 000000008F84: D1D3003E 04FAB358
	v_max3_f32 v62, v90, v91, v62                              // 000000008F8C: D1D3003E 04FAB75A
	v_max3_f32 v62, v92, v93, v62                              // 000000008F94: D1D3003E 04FABB5C
	v_max3_f32 v62, v94, v95, v62                              // 000000008F9C: D1D3003E 04FABF5E
	v_mov_b32_e32 v41, 0xff800000                              // 000000008FA4: 7E5202FF FF800000
	v_cmp_eq_u32_e64 s[40:41], v41, v14                        // 000000008FAC: D0CA0028 00021D29
	s_nop 1                                                    // 000000008FB4: BF800001
	v_max_f32_e32 v18, v62, v14                                // 000000008FB8: 16241D3E
	v_mul_f32_e32 v67, s64, v18                                // 000000008FBC: 0A862440
	v_fma_f32 v128, v128, s64, -v67                            // 000000008FC0: D1CB0080 850C8180
	v_fma_f32 v129, v129, s64, -v67                            // 000000008FC8: D1CB0081 850C8181
	v_fma_f32 v130, v130, s64, -v67                            // 000000008FD0: D1CB0082 850C8182
	v_fma_f32 v131, v131, s64, -v67                            // 000000008FD8: D1CB0083 850C8183
	v_fma_f32 v132, v132, s64, -v67                            // 000000008FE0: D1CB0084 850C8184
	v_fma_f32 v133, v133, s64, -v67                            // 000000008FE8: D1CB0085 850C8185
	v_fma_f32 v134, v134, s64, -v67                            // 000000008FF0: D1CB0086 850C8186
	v_fma_f32 v135, v135, s64, -v67                            // 000000008FF8: D1CB0087 850C8187
	v_fma_f32 v136, v136, s64, -v67                            // 000000009000: D1CB0088 850C8188
	v_fma_f32 v137, v137, s64, -v67                            // 000000009008: D1CB0089 850C8189
	v_fma_f32 v138, v138, s64, -v67                            // 000000009010: D1CB008A 850C818A
	v_fma_f32 v139, v139, s64, -v67                            // 000000009018: D1CB008B 850C818B
	v_fma_f32 v140, v140, s64, -v67                            // 000000009020: D1CB008C 850C818C
	v_fma_f32 v141, v141, s64, -v67                            // 000000009028: D1CB008D 850C818D
	v_fma_f32 v142, v142, s64, -v67                            // 000000009030: D1CB008E 850C818E
	v_fma_f32 v143, v143, s64, -v67                            // 000000009038: D1CB008F 850C818F
	v_exp_f32_e32 v128, v128                                   // 000000009040: 7F004180
	v_exp_f32_e32 v129, v129                                   // 000000009044: 7F024181
	v_exp_f32_e32 v130, v130                                   // 000000009048: 7F044182
	v_exp_f32_e32 v131, v131                                   // 00000000904C: 7F064183
	v_exp_f32_e32 v132, v132                                   // 000000009050: 7F084184
	v_exp_f32_e32 v133, v133                                   // 000000009054: 7F0A4185
	v_exp_f32_e32 v134, v134                                   // 000000009058: 7F0C4186
	v_exp_f32_e32 v135, v135                                   // 00000000905C: 7F0E4187
	v_exp_f32_e32 v136, v136                                   // 000000009060: 7F104188
	v_exp_f32_e32 v137, v137                                   // 000000009064: 7F124189
	v_exp_f32_e32 v138, v138                                   // 000000009068: 7F14418A
	v_exp_f32_e32 v139, v139                                   // 00000000906C: 7F16418B
	v_exp_f32_e32 v140, v140                                   // 000000009070: 7F18418C
	v_exp_f32_e32 v141, v141                                   // 000000009074: 7F1A418D
	v_exp_f32_e32 v142, v142                                   // 000000009078: 7F1C418E
	v_exp_f32_e32 v143, v143                                   // 00000000907C: 7F1E418F
	v_mul_f32_dpp v240, v252, v128 quad_perm:[0,0,0,0] row_mask:0xf bank_mask:0xf// 000000009080: 0BE100FA FF0000FC
	v_mul_f32_dpp v241, v252, v129 quad_perm:[1,1,1,1] row_mask:0xf bank_mask:0xf// 000000009088: 0BE302FA FF0055FC
	v_mul_f32_dpp v242, v252, v130 quad_perm:[2,2,2,2] row_mask:0xf bank_mask:0xf// 000000009090: 0BE504FA FF00AAFC
	v_mul_f32_dpp v243, v252, v131 quad_perm:[3,3,3,3] row_mask:0xf bank_mask:0xf// 000000009098: 0BE706FA FF00FFFC
	v_mul_f32_dpp v244, v253, v132 quad_perm:[0,0,0,0] row_mask:0xf bank_mask:0xf// 0000000090A0: 0BE908FA FF0000FD
	v_mul_f32_dpp v245, v253, v133 quad_perm:[1,1,1,1] row_mask:0xf bank_mask:0xf// 0000000090A8: 0BEB0AFA FF0055FD
	v_mul_f32_dpp v246, v253, v134 quad_perm:[2,2,2,2] row_mask:0xf bank_mask:0xf// 0000000090B0: 0BED0CFA FF00AAFD
	v_mul_f32_dpp v247, v253, v135 quad_perm:[3,3,3,3] row_mask:0xf bank_mask:0xf// 0000000090B8: 0BEF0EFA FF00FFFD
	v_mul_f32_dpp v248, v254, v136 quad_perm:[0,0,0,0] row_mask:0xf bank_mask:0xf// 0000000090C0: 0BF110FA FF0000FE
	v_mul_f32_dpp v249, v254, v137 quad_perm:[1,1,1,1] row_mask:0xf bank_mask:0xf// 0000000090C8: 0BF312FA FF0055FE
	v_mul_f32_dpp v250, v254, v138 quad_perm:[2,2,2,2] row_mask:0xf bank_mask:0xf// 0000000090D0: 0BF514FA FF00AAFE
	v_mul_f32_dpp v251, v254, v139 quad_perm:[3,3,3,3] row_mask:0xf bank_mask:0xf// 0000000090D8: 0BF716FA FF00FFFE
	v_mul_f32_dpp v252, v255, v140 quad_perm:[0,0,0,0] row_mask:0xf bank_mask:0xf// 0000000090E0: 0BF918FA FF0000FF
	v_mul_f32_dpp v253, v255, v141 quad_perm:[1,1,1,1] row_mask:0xf bank_mask:0xf// 0000000090E8: 0BFB1AFA FF0055FF
	v_mul_f32_dpp v254, v255, v142 quad_perm:[2,2,2,2] row_mask:0xf bank_mask:0xf// 0000000090F0: 0BFD1CFA FF00AAFF
	v_mul_f32_dpp v255, v255, v143 quad_perm:[3,3,3,3] row_mask:0xf bank_mask:0xf// 0000000090F8: 0BFF1EFA FF00FFFF
	v_mov_b32_e32 v62, 0x358637bd                              // 000000009100: 7E7C02FF 358637BD
	v_max3_f32 v62, |v240|, |v241|, v62                        // 000000009108: D1D3033E 04FBE3F0
	v_max3_f32 v62, |v242|, |v243|, v62                        // 000000009110: D1D3033E 04FBE7F2
	v_max3_f32 v62, |v244|, |v245|, v62                        // 000000009118: D1D3033E 04FBEBF4
	v_max3_f32 v62, |v246|, |v247|, v62                        // 000000009120: D1D3033E 04FBEFF6
	v_max3_f32 v62, |v248|, |v249|, v62                        // 000000009128: D1D3033E 04FBF3F8
	v_max3_f32 v62, |v250|, |v251|, v62                        // 000000009130: D1D3033E 04FBF7FA
	v_max3_f32 v62, |v252|, |v253|, v62                        // 000000009138: D1D3033E 04FBFBFC
	v_max3_f32 v62, |v254|, |v255|, v62                        // 000000009140: D1D3033E 04FBFFFE
	ds_write_b32 v11, v62 offset:20992                         // 000000009148: D81A5200 00003E0B
	v_sub_f32_e32 v63, v14, v18                                // 000000009150: 047E250E
	v_cndmask_b32_e64 v63, v63, 0, s[40:41]                    // 000000009154: D100003F 00A1013F
	v_mov_b32_e32 v14, v18                                     // 00000000915C: 7E1C0312
	v_mul_f32_e32 v63, s64, v63                                // 000000009160: 0A7E7E40
	v_exp_f32_e32 v63, v63                                     // 000000009164: 7E7E413F
	s_waitcnt lgkmcnt(0)                                       // 000000009168: BF8CC07F
	s_barrier                                                  // 00000000916C: BF8A0000
	ds_read_b32 v80, v10 offset:20992                          // 000000009170: D86C5200 5000000A
	ds_read_b32 v81, v10 offset:21056                          // 000000009178: D86C5240 5100000A
	ds_read_b32 v82, v10 offset:21120                          // 000000009180: D86C5280 5200000A
	ds_read_b32 v83, v10 offset:21184                          // 000000009188: D86C52C0 5300000A
	ds_read_b32 v84, v10 offset:21248                          // 000000009190: D86C5300 5400000A
	ds_read_b32 v85, v10 offset:21312                          // 000000009198: D86C5340 5500000A
	ds_read_b32 v86, v10 offset:21376                          // 0000000091A0: D86C5380 5600000A
	ds_read_b32 v87, v10 offset:21440                          // 0000000091A8: D86C53C0 5700000A
	ds_read_b32 v88, v10 offset:21504                          // 0000000091B0: D86C5400 5800000A
	ds_read_b32 v89, v10 offset:21568                          // 0000000091B8: D86C5440 5900000A
	ds_read_b32 v90, v10 offset:21632                          // 0000000091C0: D86C5480 5A00000A
	ds_read_b32 v91, v10 offset:21696                          // 0000000091C8: D86C54C0 5B00000A
	ds_read_b32 v92, v10 offset:21760                          // 0000000091D0: D86C5500 5C00000A
	ds_read_b32 v93, v10 offset:21824                          // 0000000091D8: D86C5540 5D00000A
	ds_read_b32 v94, v10 offset:21888                          // 0000000091E0: D86C5580 5E00000A
	ds_read_b32 v95, v10 offset:21952                          // 0000000091E8: D86C55C0 5F00000A
	v_mul_f32_e32 v47, v63, v47                                // 0000000091F0: 0A5E5F3F
	v_mov_b32_e32 v18, v128                                    // 0000000091F4: 7E240380
	v_add_f32_e32 v18, v129, v18                               // 0000000091F8: 02242581
	v_add_f32_e32 v18, v130, v18                               // 0000000091FC: 02242582
	v_add_f32_e32 v18, v131, v18                               // 000000009200: 02242583
	v_add_f32_e32 v18, v132, v18                               // 000000009204: 02242584
	;; [unrolled: 1-line block ×3, first 2 shown]
	v_add_f32_e32 v18, v134, v18                               // 00000000920C: 02242586
	v_add_f32_e32 v18, v135, v18                               // 000000009210: 02242587
	v_add_f32_e32 v18, v136, v18                               // 000000009214: 02242588
	;; [unrolled: 1-line block ×3, first 2 shown]
	v_add_f32_e32 v18, v138, v18                               // 00000000921C: 0224258A
	v_add_f32_e32 v18, v139, v18                               // 000000009220: 0224258B
	v_add_f32_e32 v18, v140, v18                               // 000000009224: 0224258C
	v_add_f32_e32 v18, v141, v18                               // 000000009228: 0224258D
	v_add_f32_e32 v18, v142, v18                               // 00000000922C: 0224258E
	v_add_f32_e32 v18, v143, v18                               // 000000009230: 0224258F
	v_add_f32_e32 v47, v18, v47                                // 000000009234: 025E5F12
	s_waitcnt lgkmcnt(0)                                       // 000000009238: BF8CC07F
	v_max3_f32 v62, |v80|, |v81|, v62                          // 00000000923C: D1D3033E 04FAA350
	v_max3_f32 v62, |v82|, |v83|, v62                          // 000000009244: D1D3033E 04FAA752
	v_max3_f32 v62, |v84|, |v85|, v62                          // 00000000924C: D1D3033E 04FAAB54
	v_max3_f32 v62, |v86|, |v87|, v62                          // 000000009254: D1D3033E 04FAAF56
	v_max3_f32 v62, |v88|, |v89|, v62                          // 00000000925C: D1D3033E 04FAB358
	v_max3_f32 v62, |v90|, |v91|, v62                          // 000000009264: D1D3033E 04FAB75A
	v_max3_f32 v62, |v92|, |v93|, v62                          // 00000000926C: D1D3033E 04FABB5C
	v_max3_f32 v62, |v94|, |v95|, v62                          // 000000009274: D1D3033E 04FABF5E
	s_nop 2                                                    // 00000000927C: BF800002
	v_rcp_f32_e32 v62, v62                                     // 000000009280: 7E7C453E
	s_nop 1                                                    // 000000009284: BF800001
	v_mul_f32_e32 v62, 0x42fe0000, v62                         // 000000009288: 0A7C7CFF 42FE0000
	v_mul_f32_e32 v128, v62, v240                              // 000000009290: 0B01E13E
	v_mul_f32_e32 v129, v62, v241                              // 000000009294: 0B03E33E
	v_mul_f32_e32 v130, v62, v242                              // 000000009298: 0B05E53E
	v_mul_f32_e32 v131, v62, v243                              // 00000000929C: 0B07E73E
	v_mul_f32_e32 v132, v62, v244                              // 0000000092A0: 0B09E93E
	v_mul_f32_e32 v133, v62, v245                              // 0000000092A4: 0B0BEB3E
	v_mul_f32_e32 v134, v62, v246                              // 0000000092A8: 0B0DED3E
	v_mul_f32_e32 v135, v62, v247                              // 0000000092AC: 0B0FEF3E
	v_mul_f32_e32 v136, v62, v248                              // 0000000092B0: 0B11F13E
	v_mul_f32_e32 v137, v62, v249                              // 0000000092B4: 0B13F33E
	v_mul_f32_e32 v138, v62, v250                              // 0000000092B8: 0B15F53E
	v_mul_f32_e32 v139, v62, v251                              // 0000000092BC: 0B17F73E
	v_mul_f32_e32 v140, v62, v252                              // 0000000092C0: 0B19F93E
	v_mul_f32_e32 v141, v62, v253                              // 0000000092C4: 0B1BFB3E
	v_mul_f32_e32 v142, v62, v254                              // 0000000092C8: 0B1DFD3E
	v_mul_f32_e32 v143, v62, v255                              // 0000000092CC: 0B1FFF3E
	v_cvt_i32_f32_e32 v128, v128                               // 0000000092D0: 7F001180
	v_cvt_i32_f32_e32 v129, v129                               // 0000000092D4: 7F021181
	v_cvt_i32_f32_e32 v130, v130                               // 0000000092D8: 7F041182
	v_cvt_i32_f32_e32 v131, v131                               // 0000000092DC: 7F061183
	v_cvt_i32_f32_e32 v132, v132                               // 0000000092E0: 7F081184
	v_cvt_i32_f32_e32 v133, v133                               // 0000000092E4: 7F0A1185
	v_cvt_i32_f32_e32 v134, v134                               // 0000000092E8: 7F0C1186
	v_cvt_i32_f32_e32 v135, v135                               // 0000000092EC: 7F0E1187
	v_cvt_i32_f32_e32 v136, v136                               // 0000000092F0: 7F101188
	v_cvt_i32_f32_e32 v137, v137                               // 0000000092F4: 7F121189
	v_cvt_i32_f32_e32 v138, v138                               // 0000000092F8: 7F14118A
	v_cvt_i32_f32_e32 v139, v139                               // 0000000092FC: 7F16118B
	v_cvt_i32_f32_e32 v140, v140                               // 000000009300: 7F18118C
	v_cvt_i32_f32_e32 v141, v141                               // 000000009304: 7F1A118D
	v_cvt_i32_f32_e32 v142, v142                               // 000000009308: 7F1C118E
	v_cvt_i32_f32_e32 v143, v143                               // 00000000930C: 7F1E118F
	v_perm_b32 v128, v129, v128, s53                           // 000000009310: D1ED0080 00D70181
	v_perm_b32 v128, v130, v128, s54                           // 000000009318: D1ED0080 00DB0182
	v_perm_b32 v128, v131, v128, s55                           // 000000009320: D1ED0080 00DF0183
	v_perm_b32 v129, v133, v132, s53                           // 000000009328: D1ED0081 00D70985
	v_perm_b32 v129, v134, v129, s54                           // 000000009330: D1ED0081 00DB0386
	v_perm_b32 v129, v135, v129, s55                           // 000000009338: D1ED0081 00DF0387
	v_perm_b32 v130, v137, v136, s53                           // 000000009340: D1ED0082 00D71189
	v_perm_b32 v130, v138, v130, s54                           // 000000009348: D1ED0082 00DB058A
	v_perm_b32 v130, v139, v130, s55                           // 000000009350: D1ED0082 00DF058B
	v_perm_b32 v131, v141, v140, s53                           // 000000009358: D1ED0083 00D7198D
	v_perm_b32 v131, v142, v131, s54                           // 000000009360: D1ED0083 00DB078E
	v_perm_b32 v131, v143, v131, s55                           // 000000009368: D1ED0083 00DF078F
	ds_write_b32 v13, v128 offset:25088                        // 000000009370: D81A6200 0000800D
	ds_write_b32 v13, v129 offset:26112                        // 000000009378: D81A6600 0000810D
	ds_write_b32 v13, v130 offset:27136                        // 000000009380: D81A6A00 0000820D
	ds_write_b32 v13, v131 offset:28160                        // 000000009388: D81A6E00 0000830D
	v_add_f32_e32 v224, v224, v192                             // 000000009390: 03C181E0
	v_add_f32_e32 v225, v225, v193                             // 000000009394: 03C383E1
	v_add_f32_e32 v226, v226, v194                             // 000000009398: 03C585E2
	v_add_f32_e32 v227, v227, v195                             // 00000000939C: 03C787E3
	v_add_f32_e32 v228, v228, v196                             // 0000000093A0: 03C989E4
	v_add_f32_e32 v229, v229, v197                             // 0000000093A4: 03CB8BE5
	v_add_f32_e32 v230, v230, v198                             // 0000000093A8: 03CD8DE6
	v_add_f32_e32 v231, v231, v199                             // 0000000093AC: 03CF8FE7
	v_rcp_f32_e32 v58, v62                                     // 0000000093B0: 7E74453E
	s_waitcnt lgkmcnt(0)                                       // 0000000093B4: BF8CC07F
	s_barrier                                                  // 0000000093B8: BF8A0000
	ds_read_b64 v[128:129], v12 offset:25088                   // 0000000093BC: D8EC6200 8000000C
	ds_read_b64 v[130:131], v12 offset:25216                   // 0000000093C4: D8EC6280 8200000C
	ds_read_b64 v[132:133], v12 offset:26112                   // 0000000093CC: D8EC6600 8400000C
	ds_read_b64 v[134:135], v12 offset:26240                   // 0000000093D4: D8EC6680 8600000C
	ds_read_b64 v[136:137], v12 offset:27136                   // 0000000093DC: D8EC6A00 8800000C
	ds_read_b64 v[138:139], v12 offset:27264                   // 0000000093E4: D8EC6A80 8A00000C
	ds_read_b64 v[140:141], v12 offset:28160                   // 0000000093EC: D8EC6E00 8C00000C
	ds_read_b64 v[142:143], v12 offset:28288                   // 0000000093F4: D8EC6E80 8E00000C
	s_waitcnt vmcnt(0)                                         // 0000000093FC: BF8C0F70
	s_barrier                                                  // 000000009400: BF8A0000
	s_waitcnt lgkmcnt(7)                                       // 000000009404: BF8CC77F
	v_mfma_i32_16x16x32_i8 v[192:195], a[64:65], v[128:129], 0 // 000000009408: D3D700C0 0A030140
	s_waitcnt lgkmcnt(6)                                       // 000000009410: BF8CC67F
	v_mfma_i32_16x16x32_i8 v[192:195], a[66:67], v[130:131], v[192:195]// 000000009414: D3D700C0 0F030542
	s_waitcnt lgkmcnt(5)                                       // 00000000941C: BF8CC57F
	v_mfma_i32_16x16x32_i8 v[192:195], a[68:69], v[132:133], v[192:195]// 000000009420: D3D700C0 0F030944
	s_waitcnt lgkmcnt(4)                                       // 000000009428: BF8CC47F
	v_mfma_i32_16x16x32_i8 v[192:195], a[70:71], v[134:135], v[192:195]// 00000000942C: D3D700C0 0F030D46
	s_waitcnt lgkmcnt(3)                                       // 000000009434: BF8CC37F
	v_mfma_i32_16x16x32_i8 v[192:195], a[72:73], v[136:137], v[192:195]// 000000009438: D3D700C0 0F031148
	s_waitcnt lgkmcnt(2)                                       // 000000009440: BF8CC27F
	v_mfma_i32_16x16x32_i8 v[192:195], a[74:75], v[138:139], v[192:195]// 000000009444: D3D700C0 0F03154A
	s_waitcnt lgkmcnt(1)                                       // 00000000944C: BF8CC17F
	v_mfma_i32_16x16x32_i8 v[192:195], a[76:77], v[140:141], v[192:195]// 000000009450: D3D700C0 0F03194C
	s_waitcnt lgkmcnt(0)                                       // 000000009458: BF8CC07F
	v_mfma_i32_16x16x32_i8 v[192:195], a[78:79], v[142:143], v[192:195]// 00000000945C: D3D700C0 0F031D4E
	v_mfma_i32_16x16x32_i8 v[196:199], a[80:81], v[128:129], 0 // 000000009464: D3D700C4 0A030150
	v_mfma_i32_16x16x32_i8 v[196:199], a[82:83], v[130:131], v[196:199]// 00000000946C: D3D700C4 0F130552
	v_mfma_i32_16x16x32_i8 v[196:199], a[84:85], v[132:133], v[196:199]// 000000009474: D3D700C4 0F130954
	v_mfma_i32_16x16x32_i8 v[196:199], a[86:87], v[134:135], v[196:199]// 00000000947C: D3D700C4 0F130D56
	v_mfma_i32_16x16x32_i8 v[196:199], a[88:89], v[136:137], v[196:199]// 000000009484: D3D700C4 0F131158
	v_mfma_i32_16x16x32_i8 v[196:199], a[90:91], v[138:139], v[196:199]// 00000000948C: D3D700C4 0F13155A
	v_mfma_i32_16x16x32_i8 v[196:199], a[92:93], v[140:141], v[196:199]// 000000009494: D3D700C4 0F13195C
	v_mfma_i32_16x16x32_i8 v[196:199], a[94:95], v[142:143], v[196:199]// 00000000949C: D3D700C4 0F131D5E
	s_nop 4                                                    // 0000000094A4: BF800004
	s_branch label_1F59                                        // 0000000094A8: BF8202AE

00000000000094ac <label_1CAB>:
	s_waitcnt vmcnt(8) lgkmcnt(0)                              // 0000000094AC: BF8C0078
	s_barrier                                                  // 0000000094B0: BF8A0000
	v_mfma_i32_16x16x32_i8 v[128:131], a[32:33], v[96:97], 0   // 0000000094B4: D3D70080 0A02C120
	v_mfma_i32_16x16x32_i8 v[128:131], a[34:35], v[98:99], v[128:131]// 0000000094BC: D3D70080 0E02C522
	v_mfma_i32_16x16x32_i8 v[128:131], a[36:37], v[100:101], v[128:131]// 0000000094C4: D3D70080 0E02C924
	v_mfma_i32_16x16x32_i8 v[128:131], a[38:39], v[102:103], v[128:131]// 0000000094CC: D3D70080 0E02CD26
	v_mfma_i32_16x16x32_i8 v[132:135], a[40:41], v[96:97], 0   // 0000000094D4: D3D70084 0A02C128
	v_mfma_i32_16x16x32_i8 v[132:135], a[42:43], v[98:99], v[132:135]// 0000000094DC: D3D70084 0E12C52A
	v_mfma_i32_16x16x32_i8 v[132:135], a[44:45], v[100:101], v[132:135]// 0000000094E4: D3D70084 0E12C92C
	v_mfma_i32_16x16x32_i8 v[132:135], a[46:47], v[102:103], v[132:135]// 0000000094EC: D3D70084 0E12CD2E
	v_mfma_i32_16x16x32_i8 v[136:139], a[48:49], v[96:97], 0   // 0000000094F4: D3D70088 0A02C130
	v_mfma_i32_16x16x32_i8 v[136:139], a[50:51], v[98:99], v[136:139]// 0000000094FC: D3D70088 0E22C532
	v_mfma_i32_16x16x32_i8 v[136:139], a[52:53], v[100:101], v[136:139]// 000000009504: D3D70088 0E22C934
	v_mfma_i32_16x16x32_i8 v[136:139], a[54:55], v[102:103], v[136:139]// 00000000950C: D3D70088 0E22CD36
	v_mfma_i32_16x16x32_i8 v[140:143], a[56:57], v[96:97], 0   // 000000009514: D3D7008C 0A02C138
	v_mfma_i32_16x16x32_i8 v[140:143], a[58:59], v[98:99], v[140:143]// 00000000951C: D3D7008C 0E32C53A
	v_mfma_i32_16x16x32_i8 v[140:143], a[60:61], v[100:101], v[140:143]// 000000009524: D3D7008C 0E32C93C
	v_mfma_i32_16x16x32_i8 v[140:143], a[62:63], v[102:103], v[140:143]// 00000000952C: D3D7008C 0E32CD3E
	v_mov_b32_dpp v41, v53 row_shr:4 row_mask:0xf bank_mask:0xf// 000000009534: 7E5202FA FF011435
	v_mov_b32_dpp v42, v53 row_shl:4 row_mask:0xf bank_mask:0xf// 00000000953C: 7E5402FA FF010435
	v_cndmask_b32_e64 v248, v53, v41, s[44:45]                 // 000000009544: D10000F8 00B25335
	v_cndmask_b32_e64 v249, v42, v53, s[44:45]                 // 00000000954C: D10000F9 00B26B2A
	v_mov_b32_dpp v41, v248 row_shr:8 row_mask:0xf bank_mask:0xf// 000000009554: 7E5202FA FF0118F8
	v_mov_b32_dpp v42, v248 row_shl:8 row_mask:0xf bank_mask:0xf// 00000000955C: 7E5402FA FF0108F8
	v_mov_b32_dpp v43, v249 row_shr:8 row_mask:0xf bank_mask:0xf// 000000009564: 7E5602FA FF0118F9
	v_mov_b32_dpp v44, v249 row_shl:8 row_mask:0xf bank_mask:0xf// 00000000956C: 7E5802FA FF0108F9
	v_mov_b32_e32 v45, v248                                    // 000000009574: 7E5A03F8
	v_mov_b32_e32 v46, v249                                    // 000000009578: 7E5C03F9
	v_cndmask_b32_e64 v248, v45, v41, s[42:43]                 // 00000000957C: D10000F8 00AA532D
	v_cndmask_b32_e64 v250, v45, v42, s[78:79]                 // 000000009584: D10000FA 013A552D
	v_cndmask_b32_e64 v249, v46, v43, s[42:43]                 // 00000000958C: D10000F9 00AA572E
	v_cndmask_b32_e64 v251, v46, v44, s[78:79]                 // 000000009594: D10000FB 013A592E
	v_mov_b32_dpp v41, v73 row_shr:4 row_mask:0xf bank_mask:0xf// 00000000959C: 7E5202FA FF011449
	v_mov_b32_dpp v42, v73 row_shl:4 row_mask:0xf bank_mask:0xf// 0000000095A4: 7E5402FA FF010449
	v_cndmask_b32_e64 v252, v73, v41, s[44:45]                 // 0000000095AC: D10000FC 00B25349
	v_cndmask_b32_e64 v253, v42, v73, s[44:45]                 // 0000000095B4: D10000FD 00B2932A
	v_mov_b32_dpp v41, v252 row_shr:8 row_mask:0xf bank_mask:0xf// 0000000095BC: 7E5202FA FF0118FC
	v_mov_b32_dpp v42, v252 row_shl:8 row_mask:0xf bank_mask:0xf// 0000000095C4: 7E5402FA FF0108FC
	v_mov_b32_dpp v43, v253 row_shr:8 row_mask:0xf bank_mask:0xf// 0000000095CC: 7E5602FA FF0118FD
	v_mov_b32_dpp v44, v253 row_shl:8 row_mask:0xf bank_mask:0xf// 0000000095D4: 7E5802FA FF0108FD
	v_mov_b32_e32 v45, v252                                    // 0000000095DC: 7E5A03FC
	v_mov_b32_e32 v46, v253                                    // 0000000095E0: 7E5C03FD
	v_cndmask_b32_e64 v252, v45, v41, s[42:43]                 // 0000000095E4: D10000FC 00AA532D
	v_cndmask_b32_e64 v254, v45, v42, s[78:79]                 // 0000000095EC: D10000FE 013A552D
	v_cndmask_b32_e64 v253, v46, v43, s[42:43]                 // 0000000095F4: D10000FD 00AA572E
	v_cndmask_b32_e64 v255, v46, v44, s[78:79]                 // 0000000095FC: D10000FF 013A592E
	v_cvt_f32_i32_e32 v128, v128                               // 000000009604: 7F000B80
	v_cvt_f32_i32_e32 v129, v129                               // 000000009608: 7F020B81
	v_cvt_f32_i32_e32 v130, v130                               // 00000000960C: 7F040B82
	v_cvt_f32_i32_e32 v131, v131                               // 000000009610: 7F060B83
	v_cvt_f32_i32_e32 v132, v132                               // 000000009614: 7F080B84
	v_cvt_f32_i32_e32 v133, v133                               // 000000009618: 7F0A0B85
	v_cvt_f32_i32_e32 v134, v134                               // 00000000961C: 7F0C0B86
	v_cvt_f32_i32_e32 v135, v135                               // 000000009620: 7F0E0B87
	v_cvt_f32_i32_e32 v136, v136                               // 000000009624: 7F100B88
	v_cvt_f32_i32_e32 v137, v137                               // 000000009628: 7F120B89
	v_cvt_f32_i32_e32 v138, v138                               // 00000000962C: 7F140B8A
	v_cvt_f32_i32_e32 v139, v139                               // 000000009630: 7F160B8B
	v_cvt_f32_i32_e32 v140, v140                               // 000000009634: 7F180B8C
	v_cvt_f32_i32_e32 v141, v141                               // 000000009638: 7F1A0B8D
	v_cvt_f32_i32_e32 v142, v142                               // 00000000963C: 7F1C0B8E
	v_cvt_f32_i32_e32 v143, v143                               // 000000009640: 7F1E0B8F
	v_mul_f32_e32 v128, v54, v128                              // 000000009644: 0B010136
	v_mul_f32_e32 v129, v54, v129                              // 000000009648: 0B030336
	v_mul_f32_e32 v130, v54, v130                              // 00000000964C: 0B050536
	v_mul_f32_e32 v131, v54, v131                              // 000000009650: 0B070736
	v_mul_f32_e32 v132, v54, v132                              // 000000009654: 0B090936
	v_mul_f32_e32 v133, v54, v133                              // 000000009658: 0B0B0B36
	v_mul_f32_e32 v134, v54, v134                              // 00000000965C: 0B0D0D36
	v_mul_f32_e32 v135, v54, v135                              // 000000009660: 0B0F0F36
	v_mul_f32_e32 v136, v54, v136                              // 000000009664: 0B111136
	v_mul_f32_e32 v137, v54, v137                              // 000000009668: 0B131336
	v_mul_f32_e32 v138, v54, v138                              // 00000000966C: 0B151536
	v_mul_f32_e32 v139, v54, v139                              // 000000009670: 0B171736
	v_mul_f32_e32 v140, v54, v140                              // 000000009674: 0B191936
	v_mul_f32_e32 v141, v54, v141                              // 000000009678: 0B1B1B36
	v_mul_f32_e32 v142, v54, v142                              // 00000000967C: 0B1D1D36
	v_mul_f32_e32 v143, v54, v143                              // 000000009680: 0B1F1F36
	v_mul_f32_dpp v128, v248, v128 quad_perm:[0,0,0,0] row_mask:0xf bank_mask:0xf// 000000009684: 0B0100FA FF0000F8
	v_mul_f32_dpp v129, v248, v129 quad_perm:[1,1,1,1] row_mask:0xf bank_mask:0xf// 00000000968C: 0B0302FA FF0055F8
	v_mul_f32_dpp v130, v248, v130 quad_perm:[2,2,2,2] row_mask:0xf bank_mask:0xf// 000000009694: 0B0504FA FF00AAF8
	v_mul_f32_dpp v131, v248, v131 quad_perm:[3,3,3,3] row_mask:0xf bank_mask:0xf// 00000000969C: 0B0706FA FF00FFF8
	v_mul_f32_dpp v132, v249, v132 quad_perm:[0,0,0,0] row_mask:0xf bank_mask:0xf// 0000000096A4: 0B0908FA FF0000F9
	v_mul_f32_dpp v133, v249, v133 quad_perm:[1,1,1,1] row_mask:0xf bank_mask:0xf// 0000000096AC: 0B0B0AFA FF0055F9
	v_mul_f32_dpp v134, v249, v134 quad_perm:[2,2,2,2] row_mask:0xf bank_mask:0xf// 0000000096B4: 0B0D0CFA FF00AAF9
	v_mul_f32_dpp v135, v249, v135 quad_perm:[3,3,3,3] row_mask:0xf bank_mask:0xf// 0000000096BC: 0B0F0EFA FF00FFF9
	v_mul_f32_dpp v136, v250, v136 quad_perm:[0,0,0,0] row_mask:0xf bank_mask:0xf// 0000000096C4: 0B1110FA FF0000FA
	v_mul_f32_dpp v137, v250, v137 quad_perm:[1,1,1,1] row_mask:0xf bank_mask:0xf// 0000000096CC: 0B1312FA FF0055FA
	v_mul_f32_dpp v138, v250, v138 quad_perm:[2,2,2,2] row_mask:0xf bank_mask:0xf// 0000000096D4: 0B1514FA FF00AAFA
	v_mul_f32_dpp v139, v250, v139 quad_perm:[3,3,3,3] row_mask:0xf bank_mask:0xf// 0000000096DC: 0B1716FA FF00FFFA
	v_mul_f32_dpp v140, v251, v140 quad_perm:[0,0,0,0] row_mask:0xf bank_mask:0xf// 0000000096E4: 0B1918FA FF0000FB
	v_mul_f32_dpp v141, v251, v141 quad_perm:[1,1,1,1] row_mask:0xf bank_mask:0xf// 0000000096EC: 0B1B1AFA FF0055FB
	v_mul_f32_dpp v142, v251, v142 quad_perm:[2,2,2,2] row_mask:0xf bank_mask:0xf// 0000000096F4: 0B1D1CFA FF00AAFB
	v_mul_f32_dpp v143, v251, v143 quad_perm:[3,3,3,3] row_mask:0xf bank_mask:0xf// 0000000096FC: 0B1F1EFA FF00FFFB
	s_and_b32 s60, s72, 0xff                                   // 000000009704: 863CFF48 000000FF
	v_mov_b32_e32 v42, s60                                     // 00000000970C: 7E54023C
	v_lshrrev_b32_e32 v240, 4, v0                              // 000000009710: 21E00084
	v_mul_i32_i24_e32 v240, 4, v240                            // 000000009714: 0DE1E084
	s_mul_i32 s60, s7, 16                                      // 000000009718: 923C9007
	v_add_u32_e32 v240, s60, v240                              // 00000000971C: 69E1E03C
	v_add_u32_e32 v241, 1, v240                                // 000000009720: 69E3E081
	v_add_u32_e32 v242, 2, v240                                // 000000009724: 69E5E082
	v_add_u32_e32 v243, 3, v240                                // 000000009728: 69E7E083
	v_mov_b32_e32 v41, 0xff800000                              // 00000000972C: 7E5202FF FF800000
	v_cmp_lt_u32_e64 s[40:41], v240, v42                       // 000000009734: D0C90028 000255F0
	v_add_u32_e32 v240, 64, v240                               // 00000000973C: 69E1E0C0
	s_nop 0                                                    // 000000009740: BF800000
	v_cndmask_b32_e64 v128, v41, v128, s[40:41]                // 000000009744: D1000080 00A30129
	v_cmp_lt_u32_e64 s[40:41], v241, v42                       // 00000000974C: D0C90028 000255F1
	v_add_u32_e32 v241, 64, v241                               // 000000009754: 69E3E2C0
	s_nop 0                                                    // 000000009758: BF800000
	v_cndmask_b32_e64 v129, v41, v129, s[40:41]                // 00000000975C: D1000081 00A30329
	v_cmp_lt_u32_e64 s[40:41], v242, v42                       // 000000009764: D0C90028 000255F2
	v_add_u32_e32 v242, 64, v242                               // 00000000976C: 69E5E4C0
	s_nop 0                                                    // 000000009770: BF800000
	v_cndmask_b32_e64 v130, v41, v130, s[40:41]                // 000000009774: D1000082 00A30529
	v_cmp_lt_u32_e64 s[40:41], v243, v42                       // 00000000977C: D0C90028 000255F3
	v_add_u32_e32 v243, 64, v243                               // 000000009784: 69E7E6C0
	s_nop 0                                                    // 000000009788: BF800000
	v_cndmask_b32_e64 v131, v41, v131, s[40:41]                // 00000000978C: D1000083 00A30729
	v_cmp_lt_u32_e64 s[40:41], v240, v42                       // 000000009794: D0C90028 000255F0
	v_add_u32_e32 v240, 64, v240                               // 00000000979C: 69E1E0C0
	s_nop 0                                                    // 0000000097A0: BF800000
	v_cndmask_b32_e64 v132, v41, v132, s[40:41]                // 0000000097A4: D1000084 00A30929
	v_cmp_lt_u32_e64 s[40:41], v241, v42                       // 0000000097AC: D0C90028 000255F1
	v_add_u32_e32 v241, 64, v241                               // 0000000097B4: 69E3E2C0
	s_nop 0                                                    // 0000000097B8: BF800000
	v_cndmask_b32_e64 v133, v41, v133, s[40:41]                // 0000000097BC: D1000085 00A30B29
	v_cmp_lt_u32_e64 s[40:41], v242, v42                       // 0000000097C4: D0C90028 000255F2
	v_add_u32_e32 v242, 64, v242                               // 0000000097CC: 69E5E4C0
	s_nop 0                                                    // 0000000097D0: BF800000
	v_cndmask_b32_e64 v134, v41, v134, s[40:41]                // 0000000097D4: D1000086 00A30D29
	v_cmp_lt_u32_e64 s[40:41], v243, v42                       // 0000000097DC: D0C90028 000255F3
	v_add_u32_e32 v243, 64, v243                               // 0000000097E4: 69E7E6C0
	s_nop 0                                                    // 0000000097E8: BF800000
	v_cndmask_b32_e64 v135, v41, v135, s[40:41]                // 0000000097EC: D1000087 00A30F29
	v_cmp_lt_u32_e64 s[40:41], v240, v42                       // 0000000097F4: D0C90028 000255F0
	v_add_u32_e32 v240, 64, v240                               // 0000000097FC: 69E1E0C0
	s_nop 0                                                    // 000000009800: BF800000
	v_cndmask_b32_e64 v136, v41, v136, s[40:41]                // 000000009804: D1000088 00A31129
	v_cmp_lt_u32_e64 s[40:41], v241, v42                       // 00000000980C: D0C90028 000255F1
	v_add_u32_e32 v241, 64, v241                               // 000000009814: 69E3E2C0
	s_nop 0                                                    // 000000009818: BF800000
	v_cndmask_b32_e64 v137, v41, v137, s[40:41]                // 00000000981C: D1000089 00A31329
	v_cmp_lt_u32_e64 s[40:41], v242, v42                       // 000000009824: D0C90028 000255F2
	v_add_u32_e32 v242, 64, v242                               // 00000000982C: 69E5E4C0
	s_nop 0                                                    // 000000009830: BF800000
	v_cndmask_b32_e64 v138, v41, v138, s[40:41]                // 000000009834: D100008A 00A31529
	v_cmp_lt_u32_e64 s[40:41], v243, v42                       // 00000000983C: D0C90028 000255F3
	v_add_u32_e32 v243, 64, v243                               // 000000009844: 69E7E6C0
	s_nop 0                                                    // 000000009848: BF800000
	v_cndmask_b32_e64 v139, v41, v139, s[40:41]                // 00000000984C: D100008B 00A31729
	v_cmp_lt_u32_e64 s[40:41], v240, v42                       // 000000009854: D0C90028 000255F0
	v_add_u32_e32 v240, 64, v240                               // 00000000985C: 69E1E0C0
	s_nop 0                                                    // 000000009860: BF800000
	v_cndmask_b32_e64 v140, v41, v140, s[40:41]                // 000000009864: D100008C 00A31929
	v_cmp_lt_u32_e64 s[40:41], v241, v42                       // 00000000986C: D0C90028 000255F1
	v_add_u32_e32 v241, 64, v241                               // 000000009874: 69E3E2C0
	s_nop 0                                                    // 000000009878: BF800000
	v_cndmask_b32_e64 v141, v41, v141, s[40:41]                // 00000000987C: D100008D 00A31B29
	v_cmp_lt_u32_e64 s[40:41], v242, v42                       // 000000009884: D0C90028 000255F2
	v_add_u32_e32 v242, 64, v242                               // 00000000988C: 69E5E4C0
	s_nop 0                                                    // 000000009890: BF800000
	v_cndmask_b32_e64 v142, v41, v142, s[40:41]                // 000000009894: D100008E 00A31D29
	v_cmp_lt_u32_e64 s[40:41], v243, v42                       // 00000000989C: D0C90028 000255F3
	v_add_u32_e32 v243, 64, v243                               // 0000000098A4: 69E7E6C0
	s_nop 0                                                    // 0000000098A8: BF800000
	v_cndmask_b32_e64 v143, v41, v143, s[40:41]                // 0000000098AC: D100008F 00A31F29
	v_mov_b32_e32 v62, v128                                    // 0000000098B4: 7E7C0380
	v_max3_f32 v62, v128, v129, v62                            // 0000000098B8: D1D3003E 04FB0380
	v_max3_f32 v62, v130, v131, v62                            // 0000000098C0: D1D3003E 04FB0782
	v_max3_f32 v62, v132, v133, v62                            // 0000000098C8: D1D3003E 04FB0B84
	v_max3_f32 v62, v134, v135, v62                            // 0000000098D0: D1D3003E 04FB0F86
	v_max3_f32 v62, v136, v137, v62                            // 0000000098D8: D1D3003E 04FB1388
	v_max3_f32 v62, v138, v139, v62                            // 0000000098E0: D1D3003E 04FB178A
	v_max3_f32 v62, v140, v141, v62                            // 0000000098E8: D1D3003E 04FB1B8C
	v_max3_f32 v62, v142, v143, v62                            // 0000000098F0: D1D3003E 04FB1F8E
	ds_write_b32 v11, v62 offset:16896                         // 0000000098F8: D81A4200 00003E0B
	v_mul_u32_u24_dpp v41, v19, v68 row_newbcast:1 row_mask:0xf bank_mask:0xf// 000000009900: 105288FA FF015113
	v_mul_u32_u24_dpp v42, v19, v68 row_newbcast:5 row_mask:0xf bank_mask:0xf// 000000009908: 105488FA FF015513
	v_mul_u32_u24_dpp v43, v19, v68 row_newbcast:9 row_mask:0xf bank_mask:0xf// 000000009910: 105688FA FF015913
	v_mul_u32_u24_dpp v44, v19, v68 row_newbcast:13 row_mask:0xf bank_mask:0xf// 000000009918: 105888FA FF015D13
	v_add_u32_e32 v33, v41, v7                                 // 000000009920: 68420F29
	v_add_u32_e32 v34, v42, v7                                 // 000000009924: 68440F2A
	v_add_u32_e32 v35, v43, v7                                 // 000000009928: 68460F2B
	v_add_u32_e32 v36, v44, v7                                 // 00000000992C: 68480F2C
	v_mul_f32_e32 v224, v63, v224                              // 000000009930: 0BC1C13F
	v_mul_f32_e32 v225, v63, v225                              // 000000009934: 0BC3C33F
	v_mul_f32_e32 v226, v63, v226                              // 000000009938: 0BC5C53F
	v_mul_f32_e32 v227, v63, v227                              // 00000000993C: 0BC7C73F
	v_mul_f32_e32 v228, v63, v228                              // 000000009940: 0BC9C93F
	v_mul_f32_e32 v229, v63, v229                              // 000000009944: 0BCBCB3F
	v_mul_f32_e32 v230, v63, v230                              // 000000009948: 0BCDCD3F
	v_mul_f32_e32 v231, v63, v231                              // 00000000994C: 0BCFCF3F
	s_waitcnt lgkmcnt(0)                                       // 000000009950: BF8CC07F
	s_barrier                                                  // 000000009954: BF8A0000
	ds_read_b32 v80, v10 offset:16896                          // 000000009958: D86C4200 5000000A
	ds_read_b32 v81, v10 offset:16960                          // 000000009960: D86C4240 5100000A
	ds_read_b32 v82, v10 offset:17024                          // 000000009968: D86C4280 5200000A
	ds_read_b32 v83, v10 offset:17088                          // 000000009970: D86C42C0 5300000A
	ds_read_b32 v84, v10 offset:17152                          // 000000009978: D86C4300 5400000A
	ds_read_b32 v85, v10 offset:17216                          // 000000009980: D86C4340 5500000A
	ds_read_b32 v86, v10 offset:17280                          // 000000009988: D86C4380 5600000A
	ds_read_b32 v87, v10 offset:17344                          // 000000009990: D86C43C0 5700000A
	ds_read_b32 v88, v10 offset:17408                          // 000000009998: D86C4400 5800000A
	ds_read_b32 v89, v10 offset:17472                          // 0000000099A0: D86C4440 5900000A
	ds_read_b32 v90, v10 offset:17536                          // 0000000099A8: D86C4480 5A00000A
	ds_read_b32 v91, v10 offset:17600                          // 0000000099B0: D86C44C0 5B00000A
	ds_read_b32 v92, v10 offset:17664                          // 0000000099B8: D86C4500 5C00000A
	ds_read_b32 v93, v10 offset:17728                          // 0000000099C0: D86C4540 5D00000A
	ds_read_b32 v94, v10 offset:17792                          // 0000000099C8: D86C4580 5E00000A
	ds_read_b32 v95, v10 offset:17856                          // 0000000099D0: D86C45C0 5F00000A
	v_cvt_f32_i32_e32 v192, v192                               // 0000000099D8: 7F800BC0
	v_cvt_f32_i32_e32 v193, v193                               // 0000000099DC: 7F820BC1
	v_cvt_f32_i32_e32 v194, v194                               // 0000000099E0: 7F840BC2
	v_cvt_f32_i32_e32 v195, v195                               // 0000000099E4: 7F860BC3
	v_cvt_f32_i32_e32 v196, v196                               // 0000000099E8: 7F880BC4
	v_cvt_f32_i32_e32 v197, v197                               // 0000000099EC: 7F8A0BC5
	v_cvt_f32_i32_e32 v198, v198                               // 0000000099F0: 7F8C0BC6
	v_cvt_f32_i32_e32 v199, v199                               // 0000000099F4: 7F8E0BC7
	v_mul_f32_e32 v192, v58, v192                              // 0000000099F8: 0B81813A
	v_mul_f32_e32 v193, v58, v193                              // 0000000099FC: 0B83833A
	v_mul_f32_e32 v194, v58, v194                              // 000000009A00: 0B85853A
	v_mul_f32_e32 v195, v58, v195                              // 000000009A04: 0B87873A
	v_mul_f32_e32 v196, v58, v196                              // 000000009A08: 0B89893A
	v_mul_f32_e32 v197, v58, v197                              // 000000009A0C: 0B8B8B3A
	v_mul_f32_e32 v198, v58, v198                              // 000000009A10: 0B8D8D3A
	v_mul_f32_e32 v199, v58, v199                              // 000000009A14: 0B8F8F3A
	s_waitcnt lgkmcnt(0)                                       // 000000009A18: BF8CC07F
	v_max3_f32 v62, v80, v81, v62                              // 000000009A1C: D1D3003E 04FAA350
	v_max3_f32 v62, v82, v83, v62                              // 000000009A24: D1D3003E 04FAA752
	v_max3_f32 v62, v84, v85, v62                              // 000000009A2C: D1D3003E 04FAAB54
	v_max3_f32 v62, v86, v87, v62                              // 000000009A34: D1D3003E 04FAAF56
	v_max3_f32 v62, v88, v89, v62                              // 000000009A3C: D1D3003E 04FAB358
	v_max3_f32 v62, v90, v91, v62                              // 000000009A44: D1D3003E 04FAB75A
	v_max3_f32 v62, v92, v93, v62                              // 000000009A4C: D1D3003E 04FABB5C
	v_max3_f32 v62, v94, v95, v62                              // 000000009A54: D1D3003E 04FABF5E
	v_mov_b32_e32 v41, 0xff800000                              // 000000009A5C: 7E5202FF FF800000
	v_cmp_eq_u32_e64 s[40:41], v41, v14                        // 000000009A64: D0CA0028 00021D29
	s_nop 1                                                    // 000000009A6C: BF800001
	v_max_f32_e32 v18, v62, v14                                // 000000009A70: 16241D3E
	v_mul_f32_e32 v67, s64, v18                                // 000000009A74: 0A862440
	v_fma_f32 v128, v128, s64, -v67                            // 000000009A78: D1CB0080 850C8180
	v_fma_f32 v129, v129, s64, -v67                            // 000000009A80: D1CB0081 850C8181
	v_fma_f32 v130, v130, s64, -v67                            // 000000009A88: D1CB0082 850C8182
	v_fma_f32 v131, v131, s64, -v67                            // 000000009A90: D1CB0083 850C8183
	v_fma_f32 v132, v132, s64, -v67                            // 000000009A98: D1CB0084 850C8184
	v_fma_f32 v133, v133, s64, -v67                            // 000000009AA0: D1CB0085 850C8185
	v_fma_f32 v134, v134, s64, -v67                            // 000000009AA8: D1CB0086 850C8186
	v_fma_f32 v135, v135, s64, -v67                            // 000000009AB0: D1CB0087 850C8187
	v_fma_f32 v136, v136, s64, -v67                            // 000000009AB8: D1CB0088 850C8188
	v_fma_f32 v137, v137, s64, -v67                            // 000000009AC0: D1CB0089 850C8189
	v_fma_f32 v138, v138, s64, -v67                            // 000000009AC8: D1CB008A 850C818A
	v_fma_f32 v139, v139, s64, -v67                            // 000000009AD0: D1CB008B 850C818B
	v_fma_f32 v140, v140, s64, -v67                            // 000000009AD8: D1CB008C 850C818C
	v_fma_f32 v141, v141, s64, -v67                            // 000000009AE0: D1CB008D 850C818D
	v_fma_f32 v142, v142, s64, -v67                            // 000000009AE8: D1CB008E 850C818E
	v_fma_f32 v143, v143, s64, -v67                            // 000000009AF0: D1CB008F 850C818F
	v_exp_f32_e32 v128, v128                                   // 000000009AF8: 7F004180
	v_exp_f32_e32 v129, v129                                   // 000000009AFC: 7F024181
	v_exp_f32_e32 v130, v130                                   // 000000009B00: 7F044182
	v_exp_f32_e32 v131, v131                                   // 000000009B04: 7F064183
	v_exp_f32_e32 v132, v132                                   // 000000009B08: 7F084184
	v_exp_f32_e32 v133, v133                                   // 000000009B0C: 7F0A4185
	v_exp_f32_e32 v134, v134                                   // 000000009B10: 7F0C4186
	v_exp_f32_e32 v135, v135                                   // 000000009B14: 7F0E4187
	v_exp_f32_e32 v136, v136                                   // 000000009B18: 7F104188
	v_exp_f32_e32 v137, v137                                   // 000000009B1C: 7F124189
	v_exp_f32_e32 v138, v138                                   // 000000009B20: 7F14418A
	v_exp_f32_e32 v139, v139                                   // 000000009B24: 7F16418B
	v_exp_f32_e32 v140, v140                                   // 000000009B28: 7F18418C
	v_exp_f32_e32 v141, v141                                   // 000000009B2C: 7F1A418D
	v_exp_f32_e32 v142, v142                                   // 000000009B30: 7F1C418E
	v_exp_f32_e32 v143, v143                                   // 000000009B34: 7F1E418F
	v_mul_f32_dpp v240, v252, v128 quad_perm:[0,0,0,0] row_mask:0xf bank_mask:0xf// 000000009B38: 0BE100FA FF0000FC
	v_mul_f32_dpp v241, v252, v129 quad_perm:[1,1,1,1] row_mask:0xf bank_mask:0xf// 000000009B40: 0BE302FA FF0055FC
	v_mul_f32_dpp v242, v252, v130 quad_perm:[2,2,2,2] row_mask:0xf bank_mask:0xf// 000000009B48: 0BE504FA FF00AAFC
	v_mul_f32_dpp v243, v252, v131 quad_perm:[3,3,3,3] row_mask:0xf bank_mask:0xf// 000000009B50: 0BE706FA FF00FFFC
	v_mul_f32_dpp v244, v253, v132 quad_perm:[0,0,0,0] row_mask:0xf bank_mask:0xf// 000000009B58: 0BE908FA FF0000FD
	v_mul_f32_dpp v245, v253, v133 quad_perm:[1,1,1,1] row_mask:0xf bank_mask:0xf// 000000009B60: 0BEB0AFA FF0055FD
	v_mul_f32_dpp v246, v253, v134 quad_perm:[2,2,2,2] row_mask:0xf bank_mask:0xf// 000000009B68: 0BED0CFA FF00AAFD
	v_mul_f32_dpp v247, v253, v135 quad_perm:[3,3,3,3] row_mask:0xf bank_mask:0xf// 000000009B70: 0BEF0EFA FF00FFFD
	v_mul_f32_dpp v248, v254, v136 quad_perm:[0,0,0,0] row_mask:0xf bank_mask:0xf// 000000009B78: 0BF110FA FF0000FE
	v_mul_f32_dpp v249, v254, v137 quad_perm:[1,1,1,1] row_mask:0xf bank_mask:0xf// 000000009B80: 0BF312FA FF0055FE
	v_mul_f32_dpp v250, v254, v138 quad_perm:[2,2,2,2] row_mask:0xf bank_mask:0xf// 000000009B88: 0BF514FA FF00AAFE
	v_mul_f32_dpp v251, v254, v139 quad_perm:[3,3,3,3] row_mask:0xf bank_mask:0xf// 000000009B90: 0BF716FA FF00FFFE
	v_mul_f32_dpp v252, v255, v140 quad_perm:[0,0,0,0] row_mask:0xf bank_mask:0xf// 000000009B98: 0BF918FA FF0000FF
	v_mul_f32_dpp v253, v255, v141 quad_perm:[1,1,1,1] row_mask:0xf bank_mask:0xf// 000000009BA0: 0BFB1AFA FF0055FF
	v_mul_f32_dpp v254, v255, v142 quad_perm:[2,2,2,2] row_mask:0xf bank_mask:0xf// 000000009BA8: 0BFD1CFA FF00AAFF
	v_mul_f32_dpp v255, v255, v143 quad_perm:[3,3,3,3] row_mask:0xf bank_mask:0xf// 000000009BB0: 0BFF1EFA FF00FFFF
	v_mov_b32_e32 v62, 0x358637bd                              // 000000009BB8: 7E7C02FF 358637BD
	v_max3_f32 v62, |v240|, |v241|, v62                        // 000000009BC0: D1D3033E 04FBE3F0
	v_max3_f32 v62, |v242|, |v243|, v62                        // 000000009BC8: D1D3033E 04FBE7F2
	v_max3_f32 v62, |v244|, |v245|, v62                        // 000000009BD0: D1D3033E 04FBEBF4
	v_max3_f32 v62, |v246|, |v247|, v62                        // 000000009BD8: D1D3033E 04FBEFF6
	v_max3_f32 v62, |v248|, |v249|, v62                        // 000000009BE0: D1D3033E 04FBF3F8
	v_max3_f32 v62, |v250|, |v251|, v62                        // 000000009BE8: D1D3033E 04FBF7FA
	v_max3_f32 v62, |v252|, |v253|, v62                        // 000000009BF0: D1D3033E 04FBFBFC
	v_max3_f32 v62, |v254|, |v255|, v62                        // 000000009BF8: D1D3033E 04FBFFFE
	ds_write_b32 v11, v62 offset:20992                         // 000000009C00: D81A5200 00003E0B
	v_sub_f32_e32 v63, v14, v18                                // 000000009C08: 047E250E
	v_cndmask_b32_e64 v63, v63, 0, s[40:41]                    // 000000009C0C: D100003F 00A1013F
	v_mov_b32_e32 v14, v18                                     // 000000009C14: 7E1C0312
	v_mul_f32_e32 v63, s64, v63                                // 000000009C18: 0A7E7E40
	v_exp_f32_e32 v63, v63                                     // 000000009C1C: 7E7E413F
	s_waitcnt lgkmcnt(0)                                       // 000000009C20: BF8CC07F
	s_barrier                                                  // 000000009C24: BF8A0000
	ds_read_b32 v80, v10 offset:20992                          // 000000009C28: D86C5200 5000000A
	ds_read_b32 v81, v10 offset:21056                          // 000000009C30: D86C5240 5100000A
	ds_read_b32 v82, v10 offset:21120                          // 000000009C38: D86C5280 5200000A
	ds_read_b32 v83, v10 offset:21184                          // 000000009C40: D86C52C0 5300000A
	ds_read_b32 v84, v10 offset:21248                          // 000000009C48: D86C5300 5400000A
	ds_read_b32 v85, v10 offset:21312                          // 000000009C50: D86C5340 5500000A
	ds_read_b32 v86, v10 offset:21376                          // 000000009C58: D86C5380 5600000A
	ds_read_b32 v87, v10 offset:21440                          // 000000009C60: D86C53C0 5700000A
	ds_read_b32 v88, v10 offset:21504                          // 000000009C68: D86C5400 5800000A
	ds_read_b32 v89, v10 offset:21568                          // 000000009C70: D86C5440 5900000A
	ds_read_b32 v90, v10 offset:21632                          // 000000009C78: D86C5480 5A00000A
	ds_read_b32 v91, v10 offset:21696                          // 000000009C80: D86C54C0 5B00000A
	ds_read_b32 v92, v10 offset:21760                          // 000000009C88: D86C5500 5C00000A
	ds_read_b32 v93, v10 offset:21824                          // 000000009C90: D86C5540 5D00000A
	ds_read_b32 v94, v10 offset:21888                          // 000000009C98: D86C5580 5E00000A
	ds_read_b32 v95, v10 offset:21952                          // 000000009CA0: D86C55C0 5F00000A
	v_mul_f32_e32 v47, v63, v47                                // 000000009CA8: 0A5E5F3F
	v_mov_b32_e32 v18, v128                                    // 000000009CAC: 7E240380
	v_add_f32_e32 v18, v129, v18                               // 000000009CB0: 02242581
	v_add_f32_e32 v18, v130, v18                               // 000000009CB4: 02242582
	v_add_f32_e32 v18, v131, v18                               // 000000009CB8: 02242583
	v_add_f32_e32 v18, v132, v18                               // 000000009CBC: 02242584
	v_add_f32_e32 v18, v133, v18                               // 000000009CC0: 02242585
	v_add_f32_e32 v18, v134, v18                               // 000000009CC4: 02242586
	v_add_f32_e32 v18, v135, v18                               // 000000009CC8: 02242587
	v_add_f32_e32 v18, v136, v18                               // 000000009CCC: 02242588
	v_add_f32_e32 v18, v137, v18                               // 000000009CD0: 02242589
	v_add_f32_e32 v18, v138, v18                               // 000000009CD4: 0224258A
	v_add_f32_e32 v18, v139, v18                               // 000000009CD8: 0224258B
	v_add_f32_e32 v18, v140, v18                               // 000000009CDC: 0224258C
	v_add_f32_e32 v18, v141, v18                               // 000000009CE0: 0224258D
	v_add_f32_e32 v18, v142, v18                               // 000000009CE4: 0224258E
	v_add_f32_e32 v18, v143, v18                               // 000000009CE8: 0224258F
	v_add_f32_e32 v47, v18, v47                                // 000000009CEC: 025E5F12
	s_waitcnt lgkmcnt(0)                                       // 000000009CF0: BF8CC07F
	v_max3_f32 v62, |v80|, |v81|, v62                          // 000000009CF4: D1D3033E 04FAA350
	v_max3_f32 v62, |v82|, |v83|, v62                          // 000000009CFC: D1D3033E 04FAA752
	v_max3_f32 v62, |v84|, |v85|, v62                          // 000000009D04: D1D3033E 04FAAB54
	v_max3_f32 v62, |v86|, |v87|, v62                          // 000000009D0C: D1D3033E 04FAAF56
	v_max3_f32 v62, |v88|, |v89|, v62                          // 000000009D14: D1D3033E 04FAB358
	v_max3_f32 v62, |v90|, |v91|, v62                          // 000000009D1C: D1D3033E 04FAB75A
	v_max3_f32 v62, |v92|, |v93|, v62                          // 000000009D24: D1D3033E 04FABB5C
	v_max3_f32 v62, |v94|, |v95|, v62                          // 000000009D2C: D1D3033E 04FABF5E
	s_nop 2                                                    // 000000009D34: BF800002
	v_rcp_f32_e32 v62, v62                                     // 000000009D38: 7E7C453E
	s_nop 1                                                    // 000000009D3C: BF800001
	v_mul_f32_e32 v62, 0x42fe0000, v62                         // 000000009D40: 0A7C7CFF 42FE0000
	v_mul_f32_e32 v128, v62, v240                              // 000000009D48: 0B01E13E
	v_mul_f32_e32 v129, v62, v241                              // 000000009D4C: 0B03E33E
	v_mul_f32_e32 v130, v62, v242                              // 000000009D50: 0B05E53E
	v_mul_f32_e32 v131, v62, v243                              // 000000009D54: 0B07E73E
	v_mul_f32_e32 v132, v62, v244                              // 000000009D58: 0B09E93E
	v_mul_f32_e32 v133, v62, v245                              // 000000009D5C: 0B0BEB3E
	v_mul_f32_e32 v134, v62, v246                              // 000000009D60: 0B0DED3E
	v_mul_f32_e32 v135, v62, v247                              // 000000009D64: 0B0FEF3E
	v_mul_f32_e32 v136, v62, v248                              // 000000009D68: 0B11F13E
	v_mul_f32_e32 v137, v62, v249                              // 000000009D6C: 0B13F33E
	v_mul_f32_e32 v138, v62, v250                              // 000000009D70: 0B15F53E
	v_mul_f32_e32 v139, v62, v251                              // 000000009D74: 0B17F73E
	v_mul_f32_e32 v140, v62, v252                              // 000000009D78: 0B19F93E
	v_mul_f32_e32 v141, v62, v253                              // 000000009D7C: 0B1BFB3E
	v_mul_f32_e32 v142, v62, v254                              // 000000009D80: 0B1DFD3E
	v_mul_f32_e32 v143, v62, v255                              // 000000009D84: 0B1FFF3E
	v_cvt_i32_f32_e32 v128, v128                               // 000000009D88: 7F001180
	v_cvt_i32_f32_e32 v129, v129                               // 000000009D8C: 7F021181
	v_cvt_i32_f32_e32 v130, v130                               // 000000009D90: 7F041182
	v_cvt_i32_f32_e32 v131, v131                               // 000000009D94: 7F061183
	v_cvt_i32_f32_e32 v132, v132                               // 000000009D98: 7F081184
	v_cvt_i32_f32_e32 v133, v133                               // 000000009D9C: 7F0A1185
	v_cvt_i32_f32_e32 v134, v134                               // 000000009DA0: 7F0C1186
	v_cvt_i32_f32_e32 v135, v135                               // 000000009DA4: 7F0E1187
	v_cvt_i32_f32_e32 v136, v136                               // 000000009DA8: 7F101188
	v_cvt_i32_f32_e32 v137, v137                               // 000000009DAC: 7F121189
	v_cvt_i32_f32_e32 v138, v138                               // 000000009DB0: 7F14118A
	v_cvt_i32_f32_e32 v139, v139                               // 000000009DB4: 7F16118B
	v_cvt_i32_f32_e32 v140, v140                               // 000000009DB8: 7F18118C
	v_cvt_i32_f32_e32 v141, v141                               // 000000009DBC: 7F1A118D
	v_cvt_i32_f32_e32 v142, v142                               // 000000009DC0: 7F1C118E
	v_cvt_i32_f32_e32 v143, v143                               // 000000009DC4: 7F1E118F
	v_perm_b32 v128, v129, v128, s53                           // 000000009DC8: D1ED0080 00D70181
	v_perm_b32 v128, v130, v128, s54                           // 000000009DD0: D1ED0080 00DB0182
	v_perm_b32 v128, v131, v128, s55                           // 000000009DD8: D1ED0080 00DF0183
	v_perm_b32 v129, v133, v132, s53                           // 000000009DE0: D1ED0081 00D70985
	v_perm_b32 v129, v134, v129, s54                           // 000000009DE8: D1ED0081 00DB0386
	v_perm_b32 v129, v135, v129, s55                           // 000000009DF0: D1ED0081 00DF0387
	v_perm_b32 v130, v137, v136, s53                           // 000000009DF8: D1ED0082 00D71189
	v_perm_b32 v130, v138, v130, s54                           // 000000009E00: D1ED0082 00DB058A
	v_perm_b32 v130, v139, v130, s55                           // 000000009E08: D1ED0082 00DF058B
	v_perm_b32 v131, v141, v140, s53                           // 000000009E10: D1ED0083 00D7198D
	v_perm_b32 v131, v142, v131, s54                           // 000000009E18: D1ED0083 00DB078E
	v_perm_b32 v131, v143, v131, s55                           // 000000009E20: D1ED0083 00DF078F
	ds_write_b32 v13, v128 offset:25088                        // 000000009E28: D81A6200 0000800D
	ds_write_b32 v13, v129 offset:26112                        // 000000009E30: D81A6600 0000810D
	ds_write_b32 v13, v130 offset:27136                        // 000000009E38: D81A6A00 0000820D
	ds_write_b32 v13, v131 offset:28160                        // 000000009E40: D81A6E00 0000830D
	v_add_f32_e32 v224, v224, v192                             // 000000009E48: 03C181E0
	v_add_f32_e32 v225, v225, v193                             // 000000009E4C: 03C383E1
	v_add_f32_e32 v226, v226, v194                             // 000000009E50: 03C585E2
	v_add_f32_e32 v227, v227, v195                             // 000000009E54: 03C787E3
	v_add_f32_e32 v228, v228, v196                             // 000000009E58: 03C989E4
	v_add_f32_e32 v229, v229, v197                             // 000000009E5C: 03CB8BE5
	v_add_f32_e32 v230, v230, v198                             // 000000009E60: 03CD8DE6
	v_add_f32_e32 v231, v231, v199                             // 000000009E64: 03CF8FE7
	v_rcp_f32_e32 v58, v62                                     // 000000009E68: 7E74453E
	s_waitcnt lgkmcnt(0)                                       // 000000009E6C: BF8CC07F
	s_barrier                                                  // 000000009E70: BF8A0000
	ds_read_b64 v[128:129], v12 offset:25088                   // 000000009E74: D8EC6200 8000000C
	ds_read_b64 v[130:131], v12 offset:25216                   // 000000009E7C: D8EC6280 8200000C
	ds_read_b64 v[132:133], v12 offset:26112                   // 000000009E84: D8EC6600 8400000C
	ds_read_b64 v[134:135], v12 offset:26240                   // 000000009E8C: D8EC6680 8600000C
	ds_read_b64 v[136:137], v12 offset:27136                   // 000000009E94: D8EC6A00 8800000C
	ds_read_b64 v[138:139], v12 offset:27264                   // 000000009E9C: D8EC6A80 8A00000C
	ds_read_b64 v[140:141], v12 offset:28160                   // 000000009EA4: D8EC6E00 8C00000C
	ds_read_b64 v[142:143], v12 offset:28288                   // 000000009EAC: D8EC6E80 8E00000C
	s_waitcnt vmcnt(0)                                         // 000000009EB4: BF8C0F70
	s_barrier                                                  // 000000009EB8: BF8A0000
	s_waitcnt lgkmcnt(7)                                       // 000000009EBC: BF8CC77F
	v_mfma_i32_16x16x32_i8 v[192:195], a[96:97], v[128:129], 0 // 000000009EC0: D3D700C0 0A030160
	s_waitcnt lgkmcnt(6)                                       // 000000009EC8: BF8CC67F
	v_mfma_i32_16x16x32_i8 v[192:195], a[98:99], v[130:131], v[192:195]// 000000009ECC: D3D700C0 0F030562
	s_waitcnt lgkmcnt(5)                                       // 000000009ED4: BF8CC57F
	v_mfma_i32_16x16x32_i8 v[192:195], a[100:101], v[132:133], v[192:195]// 000000009ED8: D3D700C0 0F030964
	s_waitcnt lgkmcnt(4)                                       // 000000009EE0: BF8CC47F
	v_mfma_i32_16x16x32_i8 v[192:195], a[102:103], v[134:135], v[192:195]// 000000009EE4: D3D700C0 0F030D66
	s_waitcnt lgkmcnt(3)                                       // 000000009EEC: BF8CC37F
	v_mfma_i32_16x16x32_i8 v[192:195], a[104:105], v[136:137], v[192:195]// 000000009EF0: D3D700C0 0F031168
	s_waitcnt lgkmcnt(2)                                       // 000000009EF8: BF8CC27F
	v_mfma_i32_16x16x32_i8 v[192:195], a[106:107], v[138:139], v[192:195]// 000000009EFC: D3D700C0 0F03156A
	s_waitcnt lgkmcnt(1)                                       // 000000009F04: BF8CC17F
	v_mfma_i32_16x16x32_i8 v[192:195], a[108:109], v[140:141], v[192:195]// 000000009F08: D3D700C0 0F03196C
	s_waitcnt lgkmcnt(0)                                       // 000000009F10: BF8CC07F
	v_mfma_i32_16x16x32_i8 v[192:195], a[110:111], v[142:143], v[192:195]// 000000009F14: D3D700C0 0F031D6E
	v_mfma_i32_16x16x32_i8 v[196:199], a[112:113], v[128:129], 0// 000000009F1C: D3D700C4 0A030170
	v_mfma_i32_16x16x32_i8 v[196:199], a[114:115], v[130:131], v[196:199]// 000000009F24: D3D700C4 0F130572
	v_mfma_i32_16x16x32_i8 v[196:199], a[116:117], v[132:133], v[196:199]// 000000009F2C: D3D700C4 0F130974
	v_mfma_i32_16x16x32_i8 v[196:199], a[118:119], v[134:135], v[196:199]// 000000009F34: D3D700C4 0F130D76
	v_mfma_i32_16x16x32_i8 v[196:199], a[120:121], v[136:137], v[196:199]// 000000009F3C: D3D700C4 0F131178
	v_mfma_i32_16x16x32_i8 v[196:199], a[122:123], v[138:139], v[196:199]// 000000009F44: D3D700C4 0F13157A
	v_mfma_i32_16x16x32_i8 v[196:199], a[124:125], v[140:141], v[196:199]// 000000009F4C: D3D700C4 0F13197C
	v_mfma_i32_16x16x32_i8 v[196:199], a[126:127], v[142:143], v[196:199]// 000000009F54: D3D700C4 0F131D7E
	s_nop 4                                                    // 000000009F5C: BF800004
	s_branch label_1F59                                        // 000000009F60: BF820000

0000000000009f64 <label_1F59>:
	v_mul_f32_e32 v224, v63, v224                              // 000000009F64: 0BC1C13F
	v_mul_f32_e32 v225, v63, v225                              // 000000009F68: 0BC3C33F
	v_mul_f32_e32 v226, v63, v226                              // 000000009F6C: 0BC5C53F
	v_mul_f32_e32 v227, v63, v227                              // 000000009F70: 0BC7C73F
	v_mul_f32_e32 v228, v63, v228                              // 000000009F74: 0BC9C93F
	v_mul_f32_e32 v229, v63, v229                              // 000000009F78: 0BCBCB3F
	v_mul_f32_e32 v230, v63, v230                              // 000000009F7C: 0BCDCD3F
	v_mul_f32_e32 v231, v63, v231                              // 000000009F80: 0BCFCF3F
	v_cvt_f32_i32_e32 v192, v192                               // 000000009F84: 7F800BC0
	v_cvt_f32_i32_e32 v193, v193                               // 000000009F88: 7F820BC1
	v_cvt_f32_i32_e32 v194, v194                               // 000000009F8C: 7F840BC2
	v_cvt_f32_i32_e32 v195, v195                               // 000000009F90: 7F860BC3
	v_cvt_f32_i32_e32 v196, v196                               // 000000009F94: 7F880BC4
	v_cvt_f32_i32_e32 v197, v197                               // 000000009F98: 7F8A0BC5
	v_cvt_f32_i32_e32 v198, v198                               // 000000009F9C: 7F8C0BC6
	v_cvt_f32_i32_e32 v199, v199                               // 000000009FA0: 7F8E0BC7
	v_mul_f32_e32 v192, v58, v192                              // 000000009FA4: 0B81813A
	v_mul_f32_e32 v193, v58, v193                              // 000000009FA8: 0B83833A
	v_mul_f32_e32 v194, v58, v194                              // 000000009FAC: 0B85853A
	v_mul_f32_e32 v195, v58, v195                              // 000000009FB0: 0B87873A
	v_mul_f32_e32 v196, v58, v196                              // 000000009FB4: 0B89893A
	v_mul_f32_e32 v197, v58, v197                              // 000000009FB8: 0B8B8B3A
	v_mul_f32_e32 v198, v58, v198                              // 000000009FBC: 0B8D8D3A
	v_mul_f32_e32 v199, v58, v199                              // 000000009FC0: 0B8F8F3A
	v_add_f32_e32 v224, v224, v192                             // 000000009FC4: 03C181E0
	v_add_f32_e32 v225, v225, v193                             // 000000009FC8: 03C383E1
	v_add_f32_e32 v226, v226, v194                             // 000000009FCC: 03C585E2
	v_add_f32_e32 v227, v227, v195                             // 000000009FD0: 03C787E3
	v_add_f32_e32 v228, v228, v196                             // 000000009FD4: 03C989E4
	v_add_f32_e32 v229, v229, v197                             // 000000009FD8: 03CB8BE5
	v_add_f32_e32 v230, v230, v198                             // 000000009FDC: 03CD8DE6
	v_add_f32_e32 v231, v231, v199                             // 000000009FE0: 03CF8FE7
	ds_write_b32 v11, v47 offset:16896                         // 000000009FE4: D81A4200 00002F0B
	s_waitcnt lgkmcnt(0)                                       // 000000009FEC: BF8CC07F
	s_barrier                                                  // 000000009FF0: BF8A0000
	ds_read_b32 v80, v10 offset:16896                          // 000000009FF4: D86C4200 5000000A
	ds_read_b32 v81, v10 offset:16960                          // 000000009FFC: D86C4240 5100000A
	ds_read_b32 v82, v10 offset:17024                          // 00000000A004: D86C4280 5200000A
	ds_read_b32 v83, v10 offset:17088                          // 00000000A00C: D86C42C0 5300000A
	ds_read_b32 v84, v10 offset:17152                          // 00000000A014: D86C4300 5400000A
	ds_read_b32 v85, v10 offset:17216                          // 00000000A01C: D86C4340 5500000A
	ds_read_b32 v86, v10 offset:17280                          // 00000000A024: D86C4380 5600000A
	ds_read_b32 v87, v10 offset:17344                          // 00000000A02C: D86C43C0 5700000A
	ds_read_b32 v88, v10 offset:17408                          // 00000000A034: D86C4400 5800000A
	ds_read_b32 v89, v10 offset:17472                          // 00000000A03C: D86C4440 5900000A
	ds_read_b32 v90, v10 offset:17536                          // 00000000A044: D86C4480 5A00000A
	ds_read_b32 v91, v10 offset:17600                          // 00000000A04C: D86C44C0 5B00000A
	ds_read_b32 v92, v10 offset:17664                          // 00000000A054: D86C4500 5C00000A
	ds_read_b32 v93, v10 offset:17728                          // 00000000A05C: D86C4540 5D00000A
	ds_read_b32 v94, v10 offset:17792                          // 00000000A064: D86C4580 5E00000A
	ds_read_b32 v95, v10 offset:17856                          // 00000000A06C: D86C45C0 5F00000A
	s_waitcnt lgkmcnt(0)                                       // 00000000A074: BF8CC07F
	v_mov_b32_e32 v47, 0                                       // 00000000A078: 7E5E0280
	v_add_f32_e32 v47, v80, v47                                // 00000000A07C: 025E5F50
	v_add_f32_e32 v47, v81, v47                                // 00000000A080: 025E5F51
	v_add_f32_e32 v47, v82, v47                                // 00000000A084: 025E5F52
	v_add_f32_e32 v47, v83, v47                                // 00000000A088: 025E5F53
	v_add_f32_e32 v47, v84, v47                                // 00000000A08C: 025E5F54
	v_add_f32_e32 v47, v85, v47                                // 00000000A090: 025E5F55
	v_add_f32_e32 v47, v86, v47                                // 00000000A094: 025E5F56
	v_add_f32_e32 v47, v87, v47                                // 00000000A098: 025E5F57
	v_add_f32_e32 v47, v88, v47                                // 00000000A09C: 025E5F58
	v_add_f32_e32 v47, v89, v47                                // 00000000A0A0: 025E5F59
	v_add_f32_e32 v47, v90, v47                                // 00000000A0A4: 025E5F5A
	v_add_f32_e32 v47, v91, v47                                // 00000000A0A8: 025E5F5B
	v_add_f32_e32 v47, v92, v47                                // 00000000A0AC: 025E5F5C
	v_add_f32_e32 v47, v93, v47                                // 00000000A0B0: 025E5F5D
	v_add_f32_e32 v47, v94, v47                                // 00000000A0B4: 025E5F5E
	v_add_f32_e32 v47, v95, v47                                // 00000000A0B8: 025E5F5F
	s_nop 1                                                    // 00000000A0BC: BF800001
	v_rcp_f32_e32 v47, v47                                     // 00000000A0C0: 7E5E452F
	s_nop 1                                                    // 00000000A0C4: BF800001
	v_mul_f32_e32 v224, v47, v224                              // 00000000A0C8: 0BC1C12F
	v_mul_f32_e32 v225, v47, v225                              // 00000000A0CC: 0BC3C32F
	v_mul_f32_e32 v226, v47, v226                              // 00000000A0D0: 0BC5C52F
	v_mul_f32_e32 v227, v47, v227                              // 00000000A0D4: 0BC7C72F
	v_mul_f32_e32 v228, v47, v228                              // 00000000A0D8: 0BC9C92F
	v_mul_f32_e32 v229, v47, v229                              // 00000000A0DC: 0BCBCB2F
	v_mul_f32_e32 v230, v47, v230                              // 00000000A0E0: 0BCDCD2F
	v_mul_f32_e32 v231, v47, v231                              // 00000000A0E4: 0BCFCF2F
	v_cmp_u_f32_e64 s[40:41], v224, v224                       // 00000000A0E8: D0480028 0003C1E0
	v_add3_u32 v21, v224, v24, 1                               // 00000000A0F0: D1FF0015 020631E0
	v_cndmask_b32_e64 v41, v21, v23, s[40:41]                  // 00000000A0F8: D1000029 00A22F15
	v_cmp_u_f32_e64 s[40:41], v225, v225                       // 00000000A100: D0480028 0003C3E1
	v_add3_u32 v21, v225, v24, 1                               // 00000000A108: D1FF0015 020631E1
	v_cndmask_b32_e64 v42, v21, v23, s[40:41]                  // 00000000A110: D100002A 00A22F15
	v_perm_b32 v224, v42, v41, s52                             // 00000000A118: D1ED00E0 00D2532A
	v_cmp_u_f32_e64 s[40:41], v226, v226                       // 00000000A120: D0480028 0003C5E2
	v_add3_u32 v21, v226, v24, 1                               // 00000000A128: D1FF0015 020631E2
	v_cndmask_b32_e64 v41, v21, v23, s[40:41]                  // 00000000A130: D1000029 00A22F15
	v_cmp_u_f32_e64 s[40:41], v227, v227                       // 00000000A138: D0480028 0003C7E3
	v_add3_u32 v21, v227, v24, 1                               // 00000000A140: D1FF0015 020631E3
	v_cndmask_b32_e64 v42, v21, v23, s[40:41]                  // 00000000A148: D100002A 00A22F15
	v_perm_b32 v225, v42, v41, s52                             // 00000000A150: D1ED00E1 00D2532A
	v_cmp_u_f32_e64 s[40:41], v228, v228                       // 00000000A158: D0480028 0003C9E4
	v_add3_u32 v21, v228, v24, 1                               // 00000000A160: D1FF0015 020631E4
	v_cndmask_b32_e64 v41, v21, v23, s[40:41]                  // 00000000A168: D1000029 00A22F15
	v_cmp_u_f32_e64 s[40:41], v229, v229                       // 00000000A170: D0480028 0003CBE5
	v_add3_u32 v21, v229, v24, 1                               // 00000000A178: D1FF0015 020631E5
	v_cndmask_b32_e64 v42, v21, v23, s[40:41]                  // 00000000A180: D100002A 00A22F15
	v_perm_b32 v226, v42, v41, s52                             // 00000000A188: D1ED00E2 00D2532A
	v_cmp_u_f32_e64 s[40:41], v230, v230                       // 00000000A190: D0480028 0003CDE6
	v_add3_u32 v21, v230, v24, 1                               // 00000000A198: D1FF0015 020631E6
	v_cndmask_b32_e64 v41, v21, v23, s[40:41]                  // 00000000A1A0: D1000029 00A22F15
	v_cmp_u_f32_e64 s[40:41], v231, v231                       // 00000000A1A8: D0480028 0003CFE7
	v_add3_u32 v21, v231, v24, 1                               // 00000000A1B0: D1FF0015 020631E7
	v_cndmask_b32_e64 v42, v21, v23, s[40:41]                  // 00000000A1B8: D100002A 00A22F15
	v_perm_b32 v227, v42, v41, s52                             // 00000000A1C0: D1ED00E3 00D2532A
	s_nop 1                                                    // 00000000A1C8: BF800001
	v_lshrrev_b32_e32 v41, 4, v0                               // 00000000A1CC: 20520084
	v_mul_i32_i24_e32 v45, 34, v41                             // 00000000A1D0: 0C5A52A2
	v_and_b32_e32 v41, 15, v0                                  // 00000000A1D4: 2652008F
	v_mul_i32_i24_e32 v42, 2, v41                              // 00000000A1D8: 0C545282
	v_add_u32_e32 v45, v42, v45                                // 00000000A1DC: 685A5B2A
	s_mul_i32 s60, s7, 0x88                                    // 00000000A1E0: 923CFF07 00000088
	v_add_u32_e32 v45, s60, v45                                // 00000000A1E8: 685A5A3C
	v_lshlrev_b32_e32 v45, 2, v45                              // 00000000A1EC: 245A5A82
	ds_write_b64 v45, v[224:225] offset:41472                  // 00000000A1F0: D89AA200 0000E02D
	ds_write_b64 v45, v[226:227] offset:43648                  // 00000000A1F8: D89AAA80 0000E22D
	v_lshrrev_b32_e32 v41, 1, v0                               // 00000000A200: 20520081
	v_mul_i32_i24_e32 v45, 34, v41                             // 00000000A204: 0C5A52A2
	v_and_b32_e32 v42, 1, v0                                   // 00000000A208: 26540081
	v_add_u32_e32 v45, v42, v45                                // 00000000A20C: 685A5B2A
	s_mul_i32 s60, s7, 2                                       // 00000000A210: 923C8207
	v_add_u32_e32 v45, s60, v45                                // 00000000A214: 685A5A3C
	v_lshlrev_b32_e32 v45, 2, v45                              // 00000000A218: 245A5A82
	s_waitcnt lgkmcnt(0)                                       // 00000000A21C: BF8CC07F
	s_barrier                                                  // 00000000A220: BF8A0000
	ds_read_b32 v224, v45 offset:41472                         // 00000000A224: D86CA200 E000002D
	ds_read_b32 v225, v45 offset:41504                         // 00000000A22C: D86CA220 E100002D
	ds_read_b32 v226, v45 offset:41536                         // 00000000A234: D86CA240 E200002D
	ds_read_b32 v227, v45 offset:41568                         // 00000000A23C: D86CA260 E300002D
	s_mul_i32 s60, s7, 0x100                                   // 00000000A244: 923CFF07 00000100
	v_lshlrev_b32_e32 v41, 2, v0                               // 00000000A24C: 24520082
	v_add_u32_e64 v41, v41, s60                                // 00000000A250: D1340029 00007929
	s_waitcnt lgkmcnt(0)                                       // 00000000A258: BF8CC07F
	buffer_store_dword v224, v41, s[8:11], 0 offen             // 00000000A25C: E0701000 8002E029
	buffer_store_dword v225, v41, s[8:11], 0 offen offset:1024 // 00000000A264: E0701400 8002E129
	s_add_u32 s8, s75, s8                                      // 00000000A26C: 8008084B
	s_addc_u32 s9, 0, s9                                       // 00000000A270: 82090980
	buffer_store_dword v226, v41, s[8:11], 0 offen             // 00000000A274: E0701000 8002E229
	buffer_store_dword v227, v41, s[8:11], 0 offen offset:1024 // 00000000A27C: E0701400 8002E329
	s_add_u32 s8, s75, s8                                      // 00000000A284: 8008084B
	s_addc_u32 s9, 0, s9                                       // 00000000A288: 82090980
	s_branch label_4276                                        // 00000000A28C: BF822252

000000000000a290 <label_2024>:
	s_mov_b32 s88, 0xa0                                        // 00000000A290: BED800FF 000000A0

000000000000a298 <label_2026>:
	s_mul_i32 s60, s3, s65                                     // 00000000A298: 923C4103
	s_mul_i32 s60, s60, 4                                      // 00000000A29C: 923C843C
	s_add_u32 s24, s60, s24                                    // 00000000A2A0: 8018183C
	s_addc_u32 s25, 0, s25                                     // 00000000A2A4: 82191980
	s_mov_b32 s56, 64                                          // 00000000A2A8: BEB800C0
	s_add_u32 s73, s72, 15                                     // 00000000A2AC: 80498F48
	s_lshr_b32 s73, s73, 4                                     // 00000000A2B0: 8F498449
	s_mul_i32 s60, s73, 4                                      // 00000000A2B4: 923C8449
	s_mov_b32 s26, s60                                         // 00000000A2B8: BE9A003C
	v_and_b32_e32 v42, 3, v0                                   // 00000000A2BC: 26540083
	v_cmp_eq_u32_e64 s[60:61], 0, v42                          // 00000000A2C0: D0CA003C 00025480
	v_and_b32_e32 v41, 12, v0                                  // 00000000A2C8: 2652008C
	v_add_u32_e32 v1, s7, v41                                  // 00000000A2CC: 68025207
	v_cndmask_b32_e64 v1, 0, v1, s[60:61]                      // 00000000A2D0: D1000001 00F20280
	v_and_b32_e32 v42, 3, v0                                   // 00000000A2D8: 26540083
	v_cmp_eq_u32_e64 s[60:61], 1, v42                          // 00000000A2DC: D0CA003C 00025481
	v_lshrrev_b32_e32 v41, 4, v0                               // 00000000A2E4: 20520084
	v_and_b32_e32 v42, 12, v0                                  // 00000000A2E8: 2654008C
	v_add_u32_e32 v41, v42, v41                                // 00000000A2EC: 6852532A
	v_cndmask_b32_e64 v41, 0, v41, s[60:61]                    // 00000000A2F0: D1000029 00F25280
	v_add_u32_e32 v1, v1, v41                                  // 00000000A2F8: 68025301
	v_lshlrev_b32_e32 v1, 2, v1                                // 00000000A2FC: 24020282
	buffer_load_dword v19, v1, s[24:27], 0 offen               // 00000000A300: E0501000 80061301
	v_add_u32_e32 v1, s56, v1                                  // 00000000A308: 68020238
	buffer_load_dword v20, v1, s[24:27], 0 offen               // 00000000A30C: E0501000 80061401
	s_cmp_le_u32 s73, 32                                       // 00000000A314: BF0BA049
	s_cselect_b32 s56, 0, s56                                  // 00000000A318: 85383880
	s_mul_i32 s60, s2, s67                                     // 00000000A31C: 923C4302
	s_mul_i32 s61, s84, s74                                    // 00000000A320: 923D4A54
	s_add_u32 s60, s60, s61                                    // 00000000A324: 803C3D3C
	s_add_u32 s12, s60, s12                                    // 00000000A328: 800C0C3C
	s_addc_u32 s13, 0, s13                                     // 00000000A32C: 820D0D80
	s_mul_i32 s60, s7, 0x108                                   // 00000000A330: 923CFF07 00000108
	s_add_u32 m0, 0, s60                                       // 00000000A338: 807C3C80
	s_mul_i32 s60, s7, 0x100                                   // 00000000A33C: 923CFF07 00000100
	v_lshlrev_b32_e32 v41, 2, v0                               // 00000000A344: 24520082
	v_add_u32_e64 v41, v41, s60                                // 00000000A348: D1340029 00007929
	v_add_u32_e32 v42, 0x400, v41                              // 00000000A350: 685452FF 00000400
	buffer_load_dword v41, s[12:15], 0 offen lds               // 00000000A358: E0511000 80030029
	s_mul_i32 s60, 4, 0x108                                    // 00000000A360: 923CFF84 00000108
	s_add_u32 m0, m0, s60                                      // 00000000A368: 807C3C7C
	buffer_load_dword v42, s[12:15], 0 offen lds               // 00000000A36C: E0511000 8003002A
	s_mul_i32 s60, 4, 0x108                                    // 00000000A374: 923CFF84 00000108
	s_add_u32 m0, m0, s60                                      // 00000000A37C: 807C3C7C
	s_add_u32 s12, s74, s12                                    // 00000000A380: 800C0C4A
	s_addc_u32 s13, 0, s13                                     // 00000000A384: 820D0D80
	buffer_load_dword v41, s[12:15], 0 offen lds               // 00000000A388: E0511000 80030029
	s_mul_i32 s60, 4, 0x108                                    // 00000000A390: 923CFF84 00000108
	s_add_u32 m0, m0, s60                                      // 00000000A398: 807C3C7C
	buffer_load_dword v42, s[12:15], 0 offen lds               // 00000000A39C: E0511000 8003002A
	s_mul_i32 s60, 4, 0x108                                    // 00000000A3A4: 923CFF84 00000108
	s_add_u32 m0, m0, s60                                      // 00000000A3AC: 807C3C7C
	s_add_u32 s12, s74, s12                                    // 00000000A3B0: 800C0C4A
	s_addc_u32 s13, 0, s13                                     // 00000000A3B4: 820D0D80
	buffer_load_dword v41, s[12:15], 0 offen lds               // 00000000A3B8: E0511000 80030029
	s_mul_i32 s60, 4, 0x108                                    // 00000000A3C0: 923CFF84 00000108
	s_add_u32 m0, m0, s60                                      // 00000000A3C8: 807C3C7C
	buffer_load_dword v42, s[12:15], 0 offen lds               // 00000000A3CC: E0511000 8003002A
	s_mul_i32 s60, 4, 0x108                                    // 00000000A3D4: 923CFF84 00000108
	s_add_u32 m0, m0, s60                                      // 00000000A3DC: 807C3C7C
	s_add_u32 s12, s74, s12                                    // 00000000A3E0: 800C0C4A
	s_addc_u32 s13, 0, s13                                     // 00000000A3E4: 820D0D80
	buffer_load_dword v41, s[12:15], 0 offen lds               // 00000000A3E8: E0511000 80030029
	s_mul_i32 s60, 4, 0x108                                    // 00000000A3F0: 923CFF84 00000108
	s_add_u32 m0, m0, s60                                      // 00000000A3F8: 807C3C7C
	buffer_load_dword v42, s[12:15], 0 offen lds               // 00000000A3FC: E0511000 8003002A
	s_mul_i32 s60, 4, 0x108                                    // 00000000A404: 923CFF84 00000108
	s_add_u32 m0, m0, s60                                      // 00000000A40C: 807C3C7C
	s_add_u32 s12, s74, s12                                    // 00000000A410: 800C0C4A
	s_addc_u32 s13, 0, s13                                     // 00000000A414: 820D0D80
	v_lshrrev_b32_e32 v41, 4, v0                               // 00000000A418: 20520084
	v_lshlrev_b32_e32 v41, 2, v41                              // 00000000A41C: 24525282
	v_and_b32_e32 v42, 3, v0                                   // 00000000A420: 26540083
	v_add_u32_e32 v41, v42, v41                                // 00000000A424: 6852532A
	v_lshlrev_b32_e32 v74, 2, v41                              // 00000000A428: 24945282
	v_mov_b32_e32 v75, v74                                     // 00000000A42C: 7E96034A
	s_mul_i32 s60, s2, 64                                      // 00000000A430: 923CC002
	s_add_u32 s32, s60, s32                                    // 00000000A434: 8020203C
	s_addc_u32 s33, 0, s33                                     // 00000000A438: 82212180
	s_add_u32 s36, s60, s36                                    // 00000000A43C: 8024243C
	s_addc_u32 s37, 0, s37                                     // 00000000A440: 82252580
	s_mul_i32 s60, s2, s76                                     // 00000000A444: 923C4C02
	s_mul_i32 s61, s84, s75                                    // 00000000A448: 923D4B54
	s_add_u32 s60, s60, s61                                    // 00000000A44C: 803C3D3C
	s_add_u32 s8, s60, s8                                      // 00000000A450: 8008083C
	s_addc_u32 s9, 0, s9                                       // 00000000A454: 82090980
	s_mov_b32 s70, 0                                           // 00000000A458: BEC60080
	s_and_b32 s71, s72, 0xffffff00                             // 00000000A45C: 8647FF48 FFFFFF00
	s_mov_b32 s42, 0xff00ff00                                  // 00000000A464: BEAA00FF FF00FF00
	s_mov_b32 s43, 0xff00ff00                                  // 00000000A46C: BEAB00FF FF00FF00
	s_mov_b32 s44, 0xf0f0f0f0                                  // 00000000A474: BEAC00FF F0F0F0F0
	s_mov_b32 s45, 0xf0f0f0f0                                  // 00000000A47C: BEAD00FF F0F0F0F0
	s_mov_b32 s78, 0xff00ff                                    // 00000000A484: BECE00FF 00FF00FF
	s_mov_b32 s79, 0xff00ff                                    // 00000000A48C: BECF00FF 00FF00FF
	v_mul_i32_i24_e64 v78, 64, s66                             // 00000000A494: D106004E 000084C0
	v_mov_b32_e32 v68, s68                                     // 00000000A49C: 7E880244
	s_mov_b32 s52, 0x7060302                                   // 00000000A4A0: BEB400FF 07060302
	s_mov_b32 s53, 0x400                                       // 00000000A4A8: BEB500FF 00000400
	s_mov_b32 s54, 0x40100                                     // 00000000A4B0: BEB600FF 00040100
	s_mov_b32 s55, 0x4020100                                   // 00000000A4B8: BEB700FF 04020100
	s_mov_b32 s6, 0x3fb8aa3b                                   // 00000000A4C0: BE8600FF 3FB8AA3B
	v_mov_b32_e32 v14, 0xff800000                              // 00000000A4C8: 7E1C02FF FF800000
	v_mov_b32_e32 v15, 0xff800000                              // 00000000A4D0: 7E1E02FF FF800000
	v_mov_b32_e32 v63, 0                                       // 00000000A4D8: 7E7E0280
	v_mov_b32_e32 v64, 0                                       // 00000000A4DC: 7E800280
	v_mov_b32_e32 v47, 0                                       // 00000000A4E0: 7E5E0280
	v_mov_b32_e32 v48, 0                                       // 00000000A4E4: 7E600280
	v_mov_b32_e32 v58, 0                                       // 00000000A4E8: 7E740280
	v_mov_b32_e32 v59, 0                                       // 00000000A4EC: 7E760280
	v_mov_b32_e32 v22, 0xffff0000                              // 00000000A4F0: 7E2C02FF FFFF0000
	v_mov_b32_e32 v23, 0x7fff0000                              // 00000000A4F8: 7E2E02FF 7FFF0000
	v_mov_b32_e32 v24, 0x7fff                                  // 00000000A500: 7E3002FF 00007FFF
	v_add_u32_e32 v1, s56, v1                                  // 00000000A508: 68020238
	v_and_b32_e32 v10, 15, v0                                  // 00000000A50C: 2614008F
	v_lshlrev_b32_e32 v10, 2, v10                              // 00000000A510: 24141482
	v_lshlrev_b32_e32 v11, 2, v0                               // 00000000A514: 24160082
	s_mul_i32 s60, 0x100, s7                                   // 00000000A518: 923C07FF 00000100
	v_add_u32_e32 v11, s60, v11                                // 00000000A520: 6816163C
	v_lshrrev_b32_e32 v41, 4, v0                               // 00000000A524: 20520084
	v_lshlrev_b32_e32 v42, 6, v41                              // 00000000A528: 24545286
	v_and_b32_e32 v41, 15, v0                                  // 00000000A52C: 2652008F
	v_lshlrev_b32_e32 v41, 1, v41                              // 00000000A530: 24525281
	v_add_u32_e32 v42, v41, v42                                // 00000000A534: 68545529
	v_lshlrev_b32_e32 v12, 2, v42                              // 00000000A538: 24185482
	v_lshrrev_b32_e32 v41, 5, v0                               // 00000000A53C: 20520085
	v_lshlrev_b32_e32 v42, 5, v41                              // 00000000A540: 24545285
	v_and_b32_e32 v41, 31, v0                                  // 00000000A544: 2652009F
	v_lshrrev_b32_e32 v43, 4, v41                              // 00000000A548: 20565284
	v_add_u32_e32 v42, v43, v42                                // 00000000A54C: 6854552B
	v_and_b32_e32 v41, 15, v0                                  // 00000000A550: 2652008F
	v_lshlrev_b32_e32 v41, 1, v41                              // 00000000A554: 24525281
	v_add_u32_e32 v42, v41, v42                                // 00000000A558: 68545529
	v_lshlrev_b32_e32 v41, 2, v42                              // 00000000A55C: 24525482
	s_mul_i32 s60, 0x100, s7                                   // 00000000A560: 923C07FF 00000100
	v_add_u32_e64 v13, v41, s60                                // 00000000A568: D134000D 00007929
	v_lshlrev_b32_e32 v6, 4, v0                                // 00000000A570: 240C0084
	s_mul_i32 s60, s2, s69                                     // 00000000A574: 923C4502
	s_add_u32 s16, s60, s16                                    // 00000000A578: 8010103C
	s_addc_u32 s17, 0, s17                                     // 00000000A57C: 82111180
	v_and_b32_e32 v41, 15, v0                                  // 00000000A580: 2652008F
	v_lshlrev_b32_e32 v7, 4, v41                               // 00000000A584: 240E5284
	s_mul_i32 s61, s2, s69                                     // 00000000A588: 923D4502
	s_mul_i32 s60, s7, 0x100                                   // 00000000A58C: 923CFF07 00000100
	s_add_u32 s60, s60, s61                                    // 00000000A594: 803C3D3C
	s_add_u32 s20, s60, s20                                    // 00000000A598: 8014143C
	s_addc_u32 s21, 0, s21                                     // 00000000A59C: 82151580
	s_waitcnt vmcnt(4)                                         // 00000000A5A0: BF8C0F74
	v_mul_u32_u24_dpp v41, v19, v68 row_newbcast:0 row_mask:0xf bank_mask:0xf// 00000000A5A4: 105288FA FF015013
	v_mul_u32_u24_dpp v42, v19, v68 row_newbcast:4 row_mask:0xf bank_mask:0xf// 00000000A5AC: 105488FA FF015413
	v_mul_u32_u24_dpp v43, v19, v68 row_newbcast:8 row_mask:0xf bank_mask:0xf// 00000000A5B4: 105688FA FF015813
	v_mul_u32_u24_dpp v44, v19, v68 row_newbcast:12 row_mask:0xf bank_mask:0xf// 00000000A5BC: 105888FA FF015C13
	v_add_u32_e32 v25, v41, v6                                 // 00000000A5C4: 68320D29
	v_add_u32_e32 v26, v42, v6                                 // 00000000A5C8: 68340D2A
	v_add_u32_e32 v27, v43, v6                                 // 00000000A5CC: 68360D2B
	v_add_u32_e32 v28, v44, v6                                 // 00000000A5D0: 68380D2C
	v_mul_u32_u24_dpp v41, v19, v68 row_newbcast:1 row_mask:0xf bank_mask:0xf// 00000000A5D4: 105288FA FF015113
	v_mul_u32_u24_dpp v42, v19, v68 row_newbcast:5 row_mask:0xf bank_mask:0xf// 00000000A5DC: 105488FA FF015513
	v_mul_u32_u24_dpp v43, v19, v68 row_newbcast:9 row_mask:0xf bank_mask:0xf// 00000000A5E4: 105688FA FF015913
	v_mul_u32_u24_dpp v44, v19, v68 row_newbcast:13 row_mask:0xf bank_mask:0xf// 00000000A5EC: 105888FA FF015D13
	v_add_u32_e32 v33, v41, v7                                 // 00000000A5F4: 68420F29
	v_add_u32_e32 v34, v42, v7                                 // 00000000A5F8: 68440F2A
	v_add_u32_e32 v35, v43, v7                                 // 00000000A5FC: 68460F2B
	v_add_u32_e32 v36, v44, v7                                 // 00000000A600: 68480F2C
	v_mul_u32_u24_dpp v41, v19, v78 quad_perm:[0,0,0,0] row_mask:0xf bank_mask:0xf// 00000000A604: 10529CFA FF000013
	v_add_u32_e32 v2, v41, v74                                 // 00000000A60C: 68049529
	v_mul_u32_u24_dpp v41, v19, v78 quad_perm:[0,0,0,0] row_mask:0xf bank_mask:0xf// 00000000A610: 10529CFA FF000013
	v_add_u32_e32 v70, v41, v75                                // 00000000A618: 688C9729
	buffer_load_dword v52, v2, s[32:35], 0 offen               // 00000000A61C: E0501000 80083402
	buffer_load_dwordx4 a[0:3], v25, s[16:19], 0 offen         // 00000000A624: E05C1000 80840019
	buffer_load_dwordx4 a[4:7], v25, s[16:19], 0 offen offset:1024// 00000000A62C: E05C1400 80840419
	buffer_load_dwordx4 a[8:11], v26, s[16:19], 0 offen        // 00000000A634: E05C1000 8084081A
	buffer_load_dwordx4 a[12:15], v26, s[16:19], 0 offen offset:1024// 00000000A63C: E05C1400 80840C1A
	buffer_load_dwordx4 a[16:19], v27, s[16:19], 0 offen       // 00000000A644: E05C1000 8084101B
	buffer_load_dwordx4 a[20:23], v27, s[16:19], 0 offen offset:1024// 00000000A64C: E05C1400 8084141B
	buffer_load_dwordx4 a[24:27], v28, s[16:19], 0 offen       // 00000000A654: E05C1000 8084181C
	buffer_load_dwordx4 a[28:31], v28, s[16:19], 0 offen offset:1024// 00000000A65C: E05C1400 80841C1C
	buffer_load_dword v72, v70, s[36:39], 0 offen              // 00000000A664: E0501000 80094846
	buffer_load_dwordx4 a[64:67], v33, s[20:23], 0 offen       // 00000000A66C: E05C1000 80854021
	buffer_load_dwordx4 a[68:71], v34, s[20:23], 0 offen       // 00000000A674: E05C1000 80854422
	buffer_load_dwordx4 a[72:75], v35, s[20:23], 0 offen       // 00000000A67C: E05C1000 80854823
	buffer_load_dwordx4 a[76:79], v36, s[20:23], 0 offen       // 00000000A684: E05C1000 80854C24
	buffer_load_dwordx4 a[80:83], v33, s[20:23], 0 offen offset:1024// 00000000A68C: E05C1400 80855021
	buffer_load_dwordx4 a[84:87], v34, s[20:23], 0 offen offset:1024// 00000000A694: E05C1400 80855422
	buffer_load_dwordx4 a[88:91], v35, s[20:23], 0 offen offset:1024// 00000000A69C: E05C1400 80855823
	buffer_load_dwordx4 a[92:95], v36, s[20:23], 0 offen offset:1024// 00000000A6A4: E05C1400 80855C24
	v_lshrrev_b32_e32 v41, 4, v0                               // 00000000A6AC: 20520084
	v_lshlrev_b32_e32 v42, 1, v41                              // 00000000A6B0: 24545281
	v_and_b32_e32 v41, 15, v0                                  // 00000000A6B4: 2652008F
	v_mul_i32_i24_e32 v41, 0x42, v41                           // 00000000A6B8: 0C5252FF 00000042
	v_add_u32_e32 v42, v41, v42                                // 00000000A6C0: 68545529
	v_lshlrev_b32_e32 v4, 2, v42                               // 00000000A6C4: 24085482
	s_mul_i32 s60, s7, 32                                      // 00000000A6C8: 923CA007
	v_add_u32_e32 v4, s60, v4                                  // 00000000A6CC: 6808083C
	s_waitcnt vmcnt(16) lgkmcnt(0)                             // 00000000A6D0: BF8C4070
	s_barrier                                                  // 00000000A6D4: BF8A0000
	ds_read_b64 v[96:97], v4                                   // 00000000A6D8: D8EC0000 60000004
	ds_read_b64 v[100:101], v4 offset:128                      // 00000000A6E0: D8EC0080 64000004
	s_waitcnt lgkmcnt(0)                                       // 00000000A6E8: BF8CC07F
	v_and_b32_e32 v99, 0xffff0000, v97                         // 00000000A6EC: 26C6C2FF FFFF0000
	v_lshlrev_b32_e32 v98, 16, v97                             // 00000000A6F4: 24C4C290
	v_and_b32_e32 v97, 0xffff0000, v96                         // 00000000A6F8: 26C2C0FF FFFF0000
	v_lshlrev_b32_e32 v96, 16, v96                             // 00000000A700: 24C0C090
	v_and_b32_e32 v103, 0xffff0000, v101                       // 00000000A704: 26CECAFF FFFF0000
	v_lshlrev_b32_e32 v102, 16, v101                           // 00000000A70C: 24CCCA90
	v_and_b32_e32 v101, 0xffff0000, v100                       // 00000000A710: 26CAC8FF FFFF0000
	v_lshlrev_b32_e32 v100, 16, v100                           // 00000000A718: 24C8C890
	v_mov_b32_e32 v62, 0x358637bd                              // 00000000A71C: 7E7C02FF 358637BD
	v_max3_f32 v62, |v96|, |v97|, v62                          // 00000000A724: D1D3033E 04FAC360
	v_max3_f32 v62, |v98|, |v99|, v62                          // 00000000A72C: D1D3033E 04FAC762
	v_max3_f32 v62, |v100|, |v101|, v62                        // 00000000A734: D1D3033E 04FACB64
	v_max3_f32 v62, |v102|, |v103|, v62                        // 00000000A73C: D1D3033E 04FACF66
	ds_write_b32 v11, v62 offset:16896                         // 00000000A744: D81A4200 00003E0B
	s_waitcnt lgkmcnt(0)                                       // 00000000A74C: BF8CC07F
	s_barrier                                                  // 00000000A750: BF8A0000
	ds_read_b32 v80, v10 offset:16896                          // 00000000A754: D86C4200 5000000A
	ds_read_b32 v81, v10 offset:16960                          // 00000000A75C: D86C4240 5100000A
	ds_read_b32 v82, v10 offset:17024                          // 00000000A764: D86C4280 5200000A
	ds_read_b32 v83, v10 offset:17088                          // 00000000A76C: D86C42C0 5300000A
	ds_read_b32 v84, v10 offset:17152                          // 00000000A774: D86C4300 5400000A
	ds_read_b32 v85, v10 offset:17216                          // 00000000A77C: D86C4340 5500000A
	ds_read_b32 v86, v10 offset:17280                          // 00000000A784: D86C4380 5600000A
	ds_read_b32 v87, v10 offset:17344                          // 00000000A78C: D86C43C0 5700000A
	ds_read_b32 v88, v10 offset:17408                          // 00000000A794: D86C4400 5800000A
	ds_read_b32 v89, v10 offset:17472                          // 00000000A79C: D86C4440 5900000A
	ds_read_b32 v90, v10 offset:17536                          // 00000000A7A4: D86C4480 5A00000A
	ds_read_b32 v91, v10 offset:17600                          // 00000000A7AC: D86C44C0 5B00000A
	ds_read_b32 v92, v10 offset:17664                          // 00000000A7B4: D86C4500 5C00000A
	ds_read_b32 v93, v10 offset:17728                          // 00000000A7BC: D86C4540 5D00000A
	ds_read_b32 v94, v10 offset:17792                          // 00000000A7C4: D86C4580 5E00000A
	ds_read_b32 v95, v10 offset:17856                          // 00000000A7CC: D86C45C0 5F00000A
	s_waitcnt lgkmcnt(0)                                       // 00000000A7D4: BF8CC07F
	v_max3_f32 v62, |v80|, |v81|, v62                          // 00000000A7D8: D1D3033E 04FAA350
	v_max3_f32 v62, |v82|, |v83|, v62                          // 00000000A7E0: D1D3033E 04FAA752
	v_max3_f32 v62, |v84|, |v85|, v62                          // 00000000A7E8: D1D3033E 04FAAB54
	v_max3_f32 v62, |v86|, |v87|, v62                          // 00000000A7F0: D1D3033E 04FAAF56
	v_max3_f32 v62, |v88|, |v89|, v62                          // 00000000A7F8: D1D3033E 04FAB358
	v_max3_f32 v62, |v90|, |v91|, v62                          // 00000000A800: D1D3033E 04FAB75A
	v_max3_f32 v62, |v92|, |v93|, v62                          // 00000000A808: D1D3033E 04FABB5C
	v_max3_f32 v62, |v94|, |v95|, v62                          // 00000000A810: D1D3033E 04FABF5E
	v_rcp_f32_e32 v62, v62                                     // 00000000A818: 7E7C453E
	s_nop 1                                                    // 00000000A81C: BF800001
	v_mul_f32_e32 v62, 0x42fe0000, v62                         // 00000000A820: 0A7C7CFF 42FE0000
	v_mul_f32_e32 v96, v62, v96                                // 00000000A828: 0AC0C13E
	v_mul_f32_e32 v97, v62, v97                                // 00000000A82C: 0AC2C33E
	v_mul_f32_e32 v98, v62, v98                                // 00000000A830: 0AC4C53E
	v_mul_f32_e32 v99, v62, v99                                // 00000000A834: 0AC6C73E
	v_mul_f32_e32 v100, v62, v100                              // 00000000A838: 0AC8C93E
	v_mul_f32_e32 v101, v62, v101                              // 00000000A83C: 0ACACB3E
	v_mul_f32_e32 v102, v62, v102                              // 00000000A840: 0ACCCD3E
	v_mul_f32_e32 v103, v62, v103                              // 00000000A844: 0ACECF3E
	v_cvt_i32_f32_e32 v96, v96                                 // 00000000A848: 7EC01160
	v_cvt_i32_f32_e32 v97, v97                                 // 00000000A84C: 7EC21161
	v_cvt_i32_f32_e32 v98, v98                                 // 00000000A850: 7EC41162
	v_cvt_i32_f32_e32 v99, v99                                 // 00000000A854: 7EC61163
	v_cvt_i32_f32_e32 v100, v100                               // 00000000A858: 7EC81164
	v_cvt_i32_f32_e32 v101, v101                               // 00000000A85C: 7ECA1165
	v_cvt_i32_f32_e32 v102, v102                               // 00000000A860: 7ECC1166
	v_cvt_i32_f32_e32 v103, v103                               // 00000000A864: 7ECE1167
	v_rcp_f32_e32 v54, v62                                     // 00000000A868: 7E6C453E
	v_perm_b32 v96, v97, v96, s53                              // 00000000A86C: D1ED0060 00D6C161
	v_perm_b32 v96, v98, v96, s54                              // 00000000A874: D1ED0060 00DAC162
	v_perm_b32 v96, v99, v96, s55                              // 00000000A87C: D1ED0060 00DEC163
	v_perm_b32 v97, v101, v100, s53                            // 00000000A884: D1ED0061 00D6C965
	v_perm_b32 v97, v102, v97, s54                             // 00000000A88C: D1ED0061 00DAC366
	v_perm_b32 v97, v103, v97, s55                             // 00000000A894: D1ED0061 00DEC367
	ds_write_b32 v13, v96 offset:25088                         // 00000000A89C: D81A6200 0000600D
	ds_write_b32 v13, v97 offset:26112                         // 00000000A8A4: D81A6600 0000610D
	s_waitcnt lgkmcnt(0)                                       // 00000000A8AC: BF8CC07F
	s_barrier                                                  // 00000000A8B0: BF8A0000
	ds_read_b64 v[96:97], v12 offset:25088                     // 00000000A8B4: D8EC6200 6000000C
	ds_read_b64 v[98:99], v12 offset:25216                     // 00000000A8BC: D8EC6280 6200000C
	ds_read_b64 v[100:101], v12 offset:26112                   // 00000000A8C4: D8EC6600 6400000C
	ds_read_b64 v[102:103], v12 offset:26240                   // 00000000A8CC: D8EC6680 6600000C
	v_mov_b32_e32 v224, 0                                      // 00000000A8D4: 7FC00280
	v_mov_b32_e32 v225, 0                                      // 00000000A8D8: 7FC20280
	v_mov_b32_e32 v226, 0                                      // 00000000A8DC: 7FC40280
	v_mov_b32_e32 v227, 0                                      // 00000000A8E0: 7FC60280
	v_mov_b32_e32 v228, 0                                      // 00000000A8E4: 7FC80280
	v_mov_b32_e32 v229, 0                                      // 00000000A8E8: 7FCA0280
	v_mov_b32_e32 v230, 0                                      // 00000000A8EC: 7FCC0280
	v_mov_b32_e32 v231, 0                                      // 00000000A8F0: 7FCE0280
	v_mov_b32_e32 v192, 0                                      // 00000000A8F4: 7F800280
	v_mov_b32_e32 v193, 0                                      // 00000000A8F8: 7F820280
	v_mov_b32_e32 v194, 0                                      // 00000000A8FC: 7F840280
	v_mov_b32_e32 v195, 0                                      // 00000000A900: 7F860280
	v_mov_b32_e32 v196, 0                                      // 00000000A904: 7F880280
	v_mov_b32_e32 v197, 0                                      // 00000000A908: 7F8A0280
	v_mov_b32_e32 v198, 0                                      // 00000000A90C: 7F8C0280
	v_mov_b32_e32 v199, 0                                      // 00000000A910: 7F8E0280
	ds_read_b64 v[104:105], v4 offset:4224                     // 00000000A914: D8EC1080 68000004
	ds_read_b64 v[108:109], v4 offset:4352                     // 00000000A91C: D8EC1100 6C000004
	s_waitcnt lgkmcnt(0)                                       // 00000000A924: BF8CC07F
	v_and_b32_e32 v107, 0xffff0000, v105                       // 00000000A928: 26D6D2FF FFFF0000
	v_lshlrev_b32_e32 v106, 16, v105                           // 00000000A930: 24D4D290
	v_and_b32_e32 v105, 0xffff0000, v104                       // 00000000A934: 26D2D0FF FFFF0000
	v_lshlrev_b32_e32 v104, 16, v104                           // 00000000A93C: 24D0D090
	v_and_b32_e32 v111, 0xffff0000, v109                       // 00000000A940: 26DEDAFF FFFF0000
	v_lshlrev_b32_e32 v110, 16, v109                           // 00000000A948: 24DCDA90
	v_and_b32_e32 v109, 0xffff0000, v108                       // 00000000A94C: 26DAD8FF FFFF0000
	v_lshlrev_b32_e32 v108, 16, v108                           // 00000000A954: 24D8D890
	v_mov_b32_e32 v62, 0x358637bd                              // 00000000A958: 7E7C02FF 358637BD
	v_max3_f32 v62, |v104|, |v105|, v62                        // 00000000A960: D1D3033E 04FAD368
	v_max3_f32 v62, |v106|, |v107|, v62                        // 00000000A968: D1D3033E 04FAD76A
	v_max3_f32 v62, |v108|, |v109|, v62                        // 00000000A970: D1D3033E 04FADB6C
	v_max3_f32 v62, |v110|, |v111|, v62                        // 00000000A978: D1D3033E 04FADF6E
	ds_write_b32 v11, v62 offset:16896                         // 00000000A980: D81A4200 00003E0B
	s_waitcnt lgkmcnt(0)                                       // 00000000A988: BF8CC07F
	s_barrier                                                  // 00000000A98C: BF8A0000
	ds_read_b32 v80, v10 offset:16896                          // 00000000A990: D86C4200 5000000A
	ds_read_b32 v81, v10 offset:16960                          // 00000000A998: D86C4240 5100000A
	ds_read_b32 v82, v10 offset:17024                          // 00000000A9A0: D86C4280 5200000A
	ds_read_b32 v83, v10 offset:17088                          // 00000000A9A8: D86C42C0 5300000A
	ds_read_b32 v84, v10 offset:17152                          // 00000000A9B0: D86C4300 5400000A
	ds_read_b32 v85, v10 offset:17216                          // 00000000A9B8: D86C4340 5500000A
	ds_read_b32 v86, v10 offset:17280                          // 00000000A9C0: D86C4380 5600000A
	ds_read_b32 v87, v10 offset:17344                          // 00000000A9C8: D86C43C0 5700000A
	ds_read_b32 v88, v10 offset:17408                          // 00000000A9D0: D86C4400 5800000A
	ds_read_b32 v89, v10 offset:17472                          // 00000000A9D8: D86C4440 5900000A
	ds_read_b32 v90, v10 offset:17536                          // 00000000A9E0: D86C4480 5A00000A
	ds_read_b32 v91, v10 offset:17600                          // 00000000A9E8: D86C44C0 5B00000A
	ds_read_b32 v92, v10 offset:17664                          // 00000000A9F0: D86C4500 5C00000A
	ds_read_b32 v93, v10 offset:17728                          // 00000000A9F8: D86C4540 5D00000A
	ds_read_b32 v94, v10 offset:17792                          // 00000000AA00: D86C4580 5E00000A
	ds_read_b32 v95, v10 offset:17856                          // 00000000AA08: D86C45C0 5F00000A
	s_waitcnt lgkmcnt(0)                                       // 00000000AA10: BF8CC07F
	v_max3_f32 v62, |v80|, |v81|, v62                          // 00000000AA14: D1D3033E 04FAA350
	v_max3_f32 v62, |v82|, |v83|, v62                          // 00000000AA1C: D1D3033E 04FAA752
	v_max3_f32 v62, |v84|, |v85|, v62                          // 00000000AA24: D1D3033E 04FAAB54
	v_max3_f32 v62, |v86|, |v87|, v62                          // 00000000AA2C: D1D3033E 04FAAF56
	v_max3_f32 v62, |v88|, |v89|, v62                          // 00000000AA34: D1D3033E 04FAB358
	v_max3_f32 v62, |v90|, |v91|, v62                          // 00000000AA3C: D1D3033E 04FAB75A
	v_max3_f32 v62, |v92|, |v93|, v62                          // 00000000AA44: D1D3033E 04FABB5C
	v_max3_f32 v62, |v94|, |v95|, v62                          // 00000000AA4C: D1D3033E 04FABF5E
	v_rcp_f32_e32 v62, v62                                     // 00000000AA54: 7E7C453E
	s_nop 1                                                    // 00000000AA58: BF800001
	v_mul_f32_e32 v62, 0x42fe0000, v62                         // 00000000AA5C: 0A7C7CFF 42FE0000
	v_mul_f32_e32 v104, v62, v104                              // 00000000AA64: 0AD0D13E
	v_mul_f32_e32 v105, v62, v105                              // 00000000AA68: 0AD2D33E
	v_mul_f32_e32 v106, v62, v106                              // 00000000AA6C: 0AD4D53E
	v_mul_f32_e32 v107, v62, v107                              // 00000000AA70: 0AD6D73E
	v_mul_f32_e32 v108, v62, v108                              // 00000000AA74: 0AD8D93E
	v_mul_f32_e32 v109, v62, v109                              // 00000000AA78: 0ADADB3E
	v_mul_f32_e32 v110, v62, v110                              // 00000000AA7C: 0ADCDD3E
	v_mul_f32_e32 v111, v62, v111                              // 00000000AA80: 0ADEDF3E
	v_cvt_i32_f32_e32 v104, v104                               // 00000000AA84: 7ED01168
	v_cvt_i32_f32_e32 v105, v105                               // 00000000AA88: 7ED21169
	v_cvt_i32_f32_e32 v106, v106                               // 00000000AA8C: 7ED4116A
	v_cvt_i32_f32_e32 v107, v107                               // 00000000AA90: 7ED6116B
	v_cvt_i32_f32_e32 v108, v108                               // 00000000AA94: 7ED8116C
	v_cvt_i32_f32_e32 v109, v109                               // 00000000AA98: 7EDA116D
	v_cvt_i32_f32_e32 v110, v110                               // 00000000AA9C: 7EDC116E
	v_cvt_i32_f32_e32 v111, v111                               // 00000000AAA0: 7EDE116F
	v_rcp_f32_e32 v55, v62                                     // 00000000AAA4: 7E6E453E
	v_perm_b32 v104, v105, v104, s53                           // 00000000AAA8: D1ED0068 00D6D169
	v_perm_b32 v104, v106, v104, s54                           // 00000000AAB0: D1ED0068 00DAD16A
	v_perm_b32 v104, v107, v104, s55                           // 00000000AAB8: D1ED0068 00DED16B
	v_perm_b32 v105, v109, v108, s53                           // 00000000AAC0: D1ED0069 00D6D96D
	v_perm_b32 v105, v110, v105, s54                           // 00000000AAC8: D1ED0069 00DAD36E
	v_perm_b32 v105, v111, v105, s55                           // 00000000AAD0: D1ED0069 00DED36F
	ds_write_b32 v13, v104 offset:25088                        // 00000000AAD8: D81A6200 0000680D
	ds_write_b32 v13, v105 offset:26112                        // 00000000AAE0: D81A6600 0000690D
	s_waitcnt lgkmcnt(0)                                       // 00000000AAE8: BF8CC07F
	s_barrier                                                  // 00000000AAEC: BF8A0000
	ds_read_b64 v[104:105], v12 offset:25088                   // 00000000AAF0: D8EC6200 6800000C
	ds_read_b64 v[106:107], v12 offset:25216                   // 00000000AAF8: D8EC6280 6A00000C
	ds_read_b64 v[108:109], v12 offset:26112                   // 00000000AB00: D8EC6600 6C00000C
	ds_read_b64 v[110:111], v12 offset:26240                   // 00000000AB08: D8EC6680 6E00000C
	v_mov_b32_e32 v232, 0                                      // 00000000AB10: 7FD00280
	v_mov_b32_e32 v233, 0                                      // 00000000AB14: 7FD20280
	v_mov_b32_e32 v234, 0                                      // 00000000AB18: 7FD40280
	v_mov_b32_e32 v235, 0                                      // 00000000AB1C: 7FD60280
	v_mov_b32_e32 v236, 0                                      // 00000000AB20: 7FD80280
	v_mov_b32_e32 v237, 0                                      // 00000000AB24: 7FDA0280
	v_mov_b32_e32 v238, 0                                      // 00000000AB28: 7FDC0280
	v_mov_b32_e32 v239, 0                                      // 00000000AB2C: 7FDE0280
	v_mov_b32_e32 v200, 0                                      // 00000000AB30: 7F900280
	v_mov_b32_e32 v201, 0                                      // 00000000AB34: 7F920280
	v_mov_b32_e32 v202, 0                                      // 00000000AB38: 7F940280
	v_mov_b32_e32 v203, 0                                      // 00000000AB3C: 7F960280
	v_mov_b32_e32 v204, 0                                      // 00000000AB40: 7F980280
	v_mov_b32_e32 v205, 0                                      // 00000000AB44: 7F9A0280
	v_mov_b32_e32 v206, 0                                      // 00000000AB48: 7F9C0280
	v_mov_b32_e32 v207, 0                                      // 00000000AB4C: 7F9E0280
	s_waitcnt vmcnt(8) lgkmcnt(0)                              // 00000000AB50: BF8C0078
	s_barrier                                                  // 00000000AB54: BF8A0000
	s_cmp_lt_u32 s73, 16                                       // 00000000AB58: BF0A9049
	s_cbranch_scc1 label_34D7                                  // 00000000AB5C: BF85127F
	s_cmp_lt_i32 s7, 2                                         // 00000000AB60: BF048207
	s_cbranch_scc0 label_2B9A                                  // 00000000AB64: BF840940

000000000000ab68 <label_225A>:
	s_waitcnt vmcnt(8) lgkmcnt(0)                              // 00000000AB68: BF8C0078
	v_mul_u32_u24_dpp v41, v20, v68 row_newbcast:0 row_mask:0xf bank_mask:0xf// 00000000AB6C: 105288FA FF015014
	v_mul_u32_u24_dpp v42, v20, v68 row_newbcast:4 row_mask:0xf bank_mask:0xf// 00000000AB74: 105488FA FF015414
	v_mul_u32_u24_dpp v43, v20, v68 row_newbcast:8 row_mask:0xf bank_mask:0xf// 00000000AB7C: 105688FA FF015814
	v_mul_u32_u24_dpp v44, v20, v68 row_newbcast:12 row_mask:0xf bank_mask:0xf// 00000000AB84: 105888FA FF015C14
	v_add_u32_e32 v29, v41, v6                                 // 00000000AB8C: 683A0D29
	v_add_u32_e32 v30, v42, v6                                 // 00000000AB90: 683C0D2A
	v_add_u32_e32 v31, v43, v6                                 // 00000000AB94: 683E0D2B
	v_add_u32_e32 v32, v44, v6                                 // 00000000AB98: 68400D2C
	v_mul_u32_u24_dpp v41, v20, v78 quad_perm:[0,0,0,0] row_mask:0xf bank_mask:0xf// 00000000AB9C: 10529CFA FF000014
	v_add_u32_e32 v3, v41, v74                                 // 00000000ABA4: 68069529
	v_mul_u32_u24_dpp v41, v20, v78 quad_perm:[0,0,0,0] row_mask:0xf bank_mask:0xf// 00000000ABA8: 10529CFA FF000014
	v_add_u32_e32 v71, v41, v75                                // 00000000ABB0: 688E9729
	v_mfma_i32_16x16x32_i8 v[128:131], a[0:1], v[96:97], 0     // 00000000ABB4: D3D70080 0A02C100
	v_mfma_i32_16x16x32_i8 v[128:131], a[2:3], v[98:99], v[128:131]// 00000000ABBC: D3D70080 0E02C502
	buffer_load_dwordx4 a[32:35], v29, s[16:19], 0 offen       // 00000000ABC4: E05C1000 8084201D
	v_mfma_i32_16x16x32_i8 v[128:131], a[4:5], v[100:101], v[128:131]// 00000000ABCC: D3D70080 0E02C904
	v_mfma_i32_16x16x32_i8 v[128:131], a[6:7], v[102:103], v[128:131]// 00000000ABD4: D3D70080 0E02CD06
	buffer_load_dword v19, v1, s[24:27], 0 offen               // 00000000ABDC: E0501000 80061301
	v_mfma_i32_16x16x32_i8 v[132:135], a[8:9], v[96:97], 0     // 00000000ABE4: D3D70084 0A02C108
	v_mfma_i32_16x16x32_i8 v[132:135], a[10:11], v[98:99], v[132:135]// 00000000ABEC: D3D70084 0E12C50A
	buffer_load_dwordx4 a[36:39], v29, s[16:19], 0 offen offset:1024// 00000000ABF4: E05C1400 8084241D
	v_mfma_i32_16x16x32_i8 v[132:135], a[12:13], v[100:101], v[132:135]// 00000000ABFC: D3D70084 0E12C90C
	v_mfma_i32_16x16x32_i8 v[132:135], a[14:15], v[102:103], v[132:135]// 00000000AC04: D3D70084 0E12CD0E
	v_mfma_i32_16x16x32_i8 v[136:139], a[16:17], v[96:97], 0   // 00000000AC0C: D3D70088 0A02C110
	v_mfma_i32_16x16x32_i8 v[136:139], a[18:19], v[98:99], v[136:139]// 00000000AC14: D3D70088 0E22C512
	buffer_load_dwordx4 a[40:43], v30, s[16:19], 0 offen       // 00000000AC1C: E05C1000 8084281E
	v_mfma_i32_16x16x32_i8 v[136:139], a[20:21], v[100:101], v[136:139]// 00000000AC24: D3D70088 0E22C914
	v_mfma_i32_16x16x32_i8 v[136:139], a[22:23], v[102:103], v[136:139]// 00000000AC2C: D3D70088 0E22CD16
	v_mfma_i32_16x16x32_i8 v[140:143], a[24:25], v[96:97], 0   // 00000000AC34: D3D7008C 0A02C118
	v_mfma_i32_16x16x32_i8 v[140:143], a[26:27], v[98:99], v[140:143]// 00000000AC3C: D3D7008C 0E32C51A
	buffer_load_dwordx4 a[44:47], v30, s[16:19], 0 offen offset:1024// 00000000AC44: E05C1400 80842C1E
	v_mfma_i32_16x16x32_i8 v[140:143], a[28:29], v[100:101], v[140:143]// 00000000AC4C: D3D7008C 0E32C91C
	v_mfma_i32_16x16x32_i8 v[140:143], a[30:31], v[102:103], v[140:143]// 00000000AC54: D3D7008C 0E32CD1E
	v_mfma_i32_16x16x32_i8 v[144:147], a[0:1], v[104:105], 0   // 00000000AC5C: D3D70090 0A02D100
	v_mfma_i32_16x16x32_i8 v[144:147], a[2:3], v[106:107], v[144:147]// 00000000AC64: D3D70090 0E42D502
	v_mfma_i32_16x16x32_i8 v[144:147], a[4:5], v[108:109], v[144:147]// 00000000AC6C: D3D70090 0E42D904
	v_mfma_i32_16x16x32_i8 v[144:147], a[6:7], v[110:111], v[144:147]// 00000000AC74: D3D70090 0E42DD06
	v_mfma_i32_16x16x32_i8 v[148:151], a[8:9], v[104:105], 0   // 00000000AC7C: D3D70094 0A02D108
	v_mfma_i32_16x16x32_i8 v[148:151], a[10:11], v[106:107], v[148:151]// 00000000AC84: D3D70094 0E52D50A
	v_mfma_i32_16x16x32_i8 v[148:151], a[12:13], v[108:109], v[148:151]// 00000000AC8C: D3D70094 0E52D90C
	v_mfma_i32_16x16x32_i8 v[148:151], a[14:15], v[110:111], v[148:151]// 00000000AC94: D3D70094 0E52DD0E
	v_mfma_i32_16x16x32_i8 v[152:155], a[16:17], v[104:105], 0 // 00000000AC9C: D3D70098 0A02D110
	v_mfma_i32_16x16x32_i8 v[152:155], a[18:19], v[106:107], v[152:155]// 00000000ACA4: D3D70098 0E62D512
	v_mfma_i32_16x16x32_i8 v[152:155], a[20:21], v[108:109], v[152:155]// 00000000ACAC: D3D70098 0E62D914
	v_mfma_i32_16x16x32_i8 v[152:155], a[22:23], v[110:111], v[152:155]// 00000000ACB4: D3D70098 0E62DD16
	v_mfma_i32_16x16x32_i8 v[156:159], a[24:25], v[104:105], 0 // 00000000ACBC: D3D7009C 0A02D118
	v_mfma_i32_16x16x32_i8 v[156:159], a[26:27], v[106:107], v[156:159]// 00000000ACC4: D3D7009C 0E72D51A
	v_mfma_i32_16x16x32_i8 v[156:159], a[28:29], v[108:109], v[156:159]// 00000000ACCC: D3D7009C 0E72D91C
	v_mfma_i32_16x16x32_i8 v[156:159], a[30:31], v[110:111], v[156:159]// 00000000ACD4: D3D7009C 0E72DD1E
	buffer_load_dword v53, v3, s[32:35], 0 offen               // 00000000ACDC: E0501000 80083503
	v_mov_b32_dpp v41, v52 row_shr:4 row_mask:0xf bank_mask:0xf// 00000000ACE4: 7E5202FA FF011434
	v_mov_b32_dpp v42, v52 row_shl:4 row_mask:0xf bank_mask:0xf// 00000000ACEC: 7E5402FA FF010434
	v_cndmask_b32_e64 v248, v52, v41, s[44:45]                 // 00000000ACF4: D10000F8 00B25334
	v_cndmask_b32_e64 v249, v42, v52, s[44:45]                 // 00000000ACFC: D10000F9 00B2692A
	v_mov_b32_dpp v41, v248 row_shr:8 row_mask:0xf bank_mask:0xf// 00000000AD04: 7E5202FA FF0118F8
	v_mov_b32_dpp v42, v248 row_shl:8 row_mask:0xf bank_mask:0xf// 00000000AD0C: 7E5402FA FF0108F8
	v_mov_b32_dpp v43, v249 row_shr:8 row_mask:0xf bank_mask:0xf// 00000000AD14: 7E5602FA FF0118F9
	v_mov_b32_dpp v44, v249 row_shl:8 row_mask:0xf bank_mask:0xf// 00000000AD1C: 7E5802FA FF0108F9
	v_mov_b32_e32 v45, v248                                    // 00000000AD24: 7E5A03F8
	v_mov_b32_e32 v46, v249                                    // 00000000AD28: 7E5C03F9
	v_cndmask_b32_e64 v248, v45, v41, s[42:43]                 // 00000000AD2C: D10000F8 00AA532D
	v_cndmask_b32_e64 v250, v45, v42, s[78:79]                 // 00000000AD34: D10000FA 013A552D
	v_cndmask_b32_e64 v249, v46, v43, s[42:43]                 // 00000000AD3C: D10000F9 00AA572E
	v_cndmask_b32_e64 v251, v46, v44, s[78:79]                 // 00000000AD44: D10000FB 013A592E
	v_mov_b32_dpp v41, v72 row_shr:4 row_mask:0xf bank_mask:0xf// 00000000AD4C: 7E5202FA FF011448
	v_mov_b32_dpp v42, v72 row_shl:4 row_mask:0xf bank_mask:0xf// 00000000AD54: 7E5402FA FF010448
	v_cndmask_b32_e64 v252, v72, v41, s[44:45]                 // 00000000AD5C: D10000FC 00B25348
	v_cndmask_b32_e64 v253, v42, v72, s[44:45]                 // 00000000AD64: D10000FD 00B2912A
	v_mov_b32_dpp v41, v252 row_shr:8 row_mask:0xf bank_mask:0xf// 00000000AD6C: 7E5202FA FF0118FC
	v_mov_b32_dpp v42, v252 row_shl:8 row_mask:0xf bank_mask:0xf// 00000000AD74: 7E5402FA FF0108FC
	v_mov_b32_dpp v43, v253 row_shr:8 row_mask:0xf bank_mask:0xf// 00000000AD7C: 7E5602FA FF0118FD
	v_mov_b32_dpp v44, v253 row_shl:8 row_mask:0xf bank_mask:0xf// 00000000AD84: 7E5802FA FF0108FD
	v_mov_b32_e32 v45, v252                                    // 00000000AD8C: 7E5A03FC
	v_mov_b32_e32 v46, v253                                    // 00000000AD90: 7E5C03FD
	v_cndmask_b32_e64 v252, v45, v41, s[42:43]                 // 00000000AD94: D10000FC 00AA532D
	v_cndmask_b32_e64 v254, v45, v42, s[78:79]                 // 00000000AD9C: D10000FE 013A552D
	v_cndmask_b32_e64 v253, v46, v43, s[42:43]                 // 00000000ADA4: D10000FD 00AA572E
	v_cndmask_b32_e64 v255, v46, v44, s[78:79]                 // 00000000ADAC: D10000FF 013A592E
	buffer_load_dword v73, v71, s[36:39], 0 offen              // 00000000ADB4: E0501000 80094947
	v_cvt_f32_i32_e32 v128, v128                               // 00000000ADBC: 7F000B80
	v_cvt_f32_i32_e32 v129, v129                               // 00000000ADC0: 7F020B81
	v_cvt_f32_i32_e32 v130, v130                               // 00000000ADC4: 7F040B82
	v_cvt_f32_i32_e32 v131, v131                               // 00000000ADC8: 7F060B83
	v_cvt_f32_i32_e32 v132, v132                               // 00000000ADCC: 7F080B84
	v_cvt_f32_i32_e32 v133, v133                               // 00000000ADD0: 7F0A0B85
	v_cvt_f32_i32_e32 v134, v134                               // 00000000ADD4: 7F0C0B86
	v_cvt_f32_i32_e32 v135, v135                               // 00000000ADD8: 7F0E0B87
	v_cvt_f32_i32_e32 v136, v136                               // 00000000ADDC: 7F100B88
	v_cvt_f32_i32_e32 v137, v137                               // 00000000ADE0: 7F120B89
	v_cvt_f32_i32_e32 v138, v138                               // 00000000ADE4: 7F140B8A
	v_cvt_f32_i32_e32 v139, v139                               // 00000000ADE8: 7F160B8B
	v_cvt_f32_i32_e32 v140, v140                               // 00000000ADEC: 7F180B8C
	v_cvt_f32_i32_e32 v141, v141                               // 00000000ADF0: 7F1A0B8D
	v_cvt_f32_i32_e32 v142, v142                               // 00000000ADF4: 7F1C0B8E
	v_cvt_f32_i32_e32 v143, v143                               // 00000000ADF8: 7F1E0B8F
	v_mul_f32_e32 v128, v54, v128                              // 00000000ADFC: 0B010136
	v_mul_f32_e32 v129, v54, v129                              // 00000000AE00: 0B030336
	v_mul_f32_e32 v130, v54, v130                              // 00000000AE04: 0B050536
	v_mul_f32_e32 v131, v54, v131                              // 00000000AE08: 0B070736
	v_mul_f32_e32 v132, v54, v132                              // 00000000AE0C: 0B090936
	v_mul_f32_e32 v133, v54, v133                              // 00000000AE10: 0B0B0B36
	v_mul_f32_e32 v134, v54, v134                              // 00000000AE14: 0B0D0D36
	v_mul_f32_e32 v135, v54, v135                              // 00000000AE18: 0B0F0F36
	v_mul_f32_e32 v136, v54, v136                              // 00000000AE1C: 0B111136
	v_mul_f32_e32 v137, v54, v137                              // 00000000AE20: 0B131336
	v_mul_f32_e32 v138, v54, v138                              // 00000000AE24: 0B151536
	v_mul_f32_e32 v139, v54, v139                              // 00000000AE28: 0B171736
	v_mul_f32_e32 v140, v54, v140                              // 00000000AE2C: 0B191936
	v_mul_f32_e32 v141, v54, v141                              // 00000000AE30: 0B1B1B36
	v_mul_f32_e32 v142, v54, v142                              // 00000000AE34: 0B1D1D36
	v_mul_f32_e32 v143, v54, v143                              // 00000000AE38: 0B1F1F36
	buffer_load_dwordx4 a[48:51], v31, s[16:19], 0 offen       // 00000000AE3C: E05C1000 8084301F
	v_mul_f32_dpp v128, v248, v128 quad_perm:[0,0,0,0] row_mask:0xf bank_mask:0xf// 00000000AE44: 0B0100FA FF0000F8
	v_mul_f32_dpp v129, v248, v129 quad_perm:[1,1,1,1] row_mask:0xf bank_mask:0xf// 00000000AE4C: 0B0302FA FF0055F8
	v_mul_f32_dpp v130, v248, v130 quad_perm:[2,2,2,2] row_mask:0xf bank_mask:0xf// 00000000AE54: 0B0504FA FF00AAF8
	v_mul_f32_dpp v131, v248, v131 quad_perm:[3,3,3,3] row_mask:0xf bank_mask:0xf// 00000000AE5C: 0B0706FA FF00FFF8
	v_mul_f32_dpp v132, v249, v132 quad_perm:[0,0,0,0] row_mask:0xf bank_mask:0xf// 00000000AE64: 0B0908FA FF0000F9
	v_mul_f32_dpp v133, v249, v133 quad_perm:[1,1,1,1] row_mask:0xf bank_mask:0xf// 00000000AE6C: 0B0B0AFA FF0055F9
	v_mul_f32_dpp v134, v249, v134 quad_perm:[2,2,2,2] row_mask:0xf bank_mask:0xf// 00000000AE74: 0B0D0CFA FF00AAF9
	v_mul_f32_dpp v135, v249, v135 quad_perm:[3,3,3,3] row_mask:0xf bank_mask:0xf// 00000000AE7C: 0B0F0EFA FF00FFF9
	v_mul_f32_dpp v136, v250, v136 quad_perm:[0,0,0,0] row_mask:0xf bank_mask:0xf// 00000000AE84: 0B1110FA FF0000FA
	v_mul_f32_dpp v137, v250, v137 quad_perm:[1,1,1,1] row_mask:0xf bank_mask:0xf// 00000000AE8C: 0B1312FA FF0055FA
	v_mul_f32_dpp v138, v250, v138 quad_perm:[2,2,2,2] row_mask:0xf bank_mask:0xf// 00000000AE94: 0B1514FA FF00AAFA
	v_mul_f32_dpp v139, v250, v139 quad_perm:[3,3,3,3] row_mask:0xf bank_mask:0xf// 00000000AE9C: 0B1716FA FF00FFFA
	v_mul_f32_dpp v140, v251, v140 quad_perm:[0,0,0,0] row_mask:0xf bank_mask:0xf// 00000000AEA4: 0B1918FA FF0000FB
	v_mul_f32_dpp v141, v251, v141 quad_perm:[1,1,1,1] row_mask:0xf bank_mask:0xf// 00000000AEAC: 0B1B1AFA FF0055FB
	v_mul_f32_dpp v142, v251, v142 quad_perm:[2,2,2,2] row_mask:0xf bank_mask:0xf// 00000000AEB4: 0B1D1CFA FF00AAFB
	v_mul_f32_dpp v143, v251, v143 quad_perm:[3,3,3,3] row_mask:0xf bank_mask:0xf// 00000000AEBC: 0B1F1EFA FF00FFFB
	buffer_load_dwordx4 a[52:55], v31, s[16:19], 0 offen offset:1024// 00000000AEC4: E05C1400 8084341F
	v_mov_b32_e32 v62, v128                                    // 00000000AECC: 7E7C0380
	v_max3_f32 v62, v128, v129, v62                            // 00000000AED0: D1D3003E 04FB0380
	v_max3_f32 v62, v130, v131, v62                            // 00000000AED8: D1D3003E 04FB0782
	v_max3_f32 v62, v132, v133, v62                            // 00000000AEE0: D1D3003E 04FB0B84
	v_max3_f32 v62, v134, v135, v62                            // 00000000AEE8: D1D3003E 04FB0F86
	v_max3_f32 v62, v136, v137, v62                            // 00000000AEF0: D1D3003E 04FB1388
	v_max3_f32 v62, v138, v139, v62                            // 00000000AEF8: D1D3003E 04FB178A
	v_max3_f32 v62, v140, v141, v62                            // 00000000AF00: D1D3003E 04FB1B8C
	v_max3_f32 v62, v142, v143, v62                            // 00000000AF08: D1D3003E 04FB1F8E
	ds_write_b32 v11, v62 offset:16896                         // 00000000AF10: D81A4200 00003E0B
	buffer_load_dwordx4 a[56:59], v32, s[16:19], 0 offen       // 00000000AF18: E05C1000 80843820
	v_mul_u32_u24_dpp v41, v20, v68 row_newbcast:1 row_mask:0xf bank_mask:0xf// 00000000AF20: 105288FA FF015114
	v_mul_u32_u24_dpp v42, v20, v68 row_newbcast:5 row_mask:0xf bank_mask:0xf// 00000000AF28: 105488FA FF015514
	v_mul_u32_u24_dpp v43, v20, v68 row_newbcast:9 row_mask:0xf bank_mask:0xf// 00000000AF30: 105688FA FF015914
	v_mul_u32_u24_dpp v44, v20, v68 row_newbcast:13 row_mask:0xf bank_mask:0xf// 00000000AF38: 105888FA FF015D14
	v_add_u32_e32 v37, v41, v7                                 // 00000000AF40: 684A0F29
	v_add_u32_e32 v38, v42, v7                                 // 00000000AF44: 684C0F2A
	v_add_u32_e32 v39, v43, v7                                 // 00000000AF48: 684E0F2B
	v_add_u32_e32 v40, v44, v7                                 // 00000000AF4C: 68500F2C
	v_mul_f32_e32 v224, v63, v224                              // 00000000AF50: 0BC1C13F
	v_mul_f32_e32 v225, v63, v225                              // 00000000AF54: 0BC3C33F
	v_mul_f32_e32 v226, v63, v226                              // 00000000AF58: 0BC5C53F
	v_mul_f32_e32 v227, v63, v227                              // 00000000AF5C: 0BC7C73F
	v_mul_f32_e32 v228, v63, v228                              // 00000000AF60: 0BC9C93F
	v_mul_f32_e32 v229, v63, v229                              // 00000000AF64: 0BCBCB3F
	v_mul_f32_e32 v230, v63, v230                              // 00000000AF68: 0BCDCD3F
	v_mul_f32_e32 v231, v63, v231                              // 00000000AF6C: 0BCFCF3F
	s_waitcnt lgkmcnt(0)                                       // 00000000AF70: BF8CC07F
	s_barrier                                                  // 00000000AF74: BF8A0000
	ds_read_b32 v80, v10 offset:16896                          // 00000000AF78: D86C4200 5000000A
	ds_read_b32 v81, v10 offset:16960                          // 00000000AF80: D86C4240 5100000A
	ds_read_b32 v82, v10 offset:17024                          // 00000000AF88: D86C4280 5200000A
	ds_read_b32 v83, v10 offset:17088                          // 00000000AF90: D86C42C0 5300000A
	ds_read_b32 v84, v10 offset:17152                          // 00000000AF98: D86C4300 5400000A
	ds_read_b32 v85, v10 offset:17216                          // 00000000AFA0: D86C4340 5500000A
	ds_read_b32 v86, v10 offset:17280                          // 00000000AFA8: D86C4380 5600000A
	ds_read_b32 v87, v10 offset:17344                          // 00000000AFB0: D86C43C0 5700000A
	ds_read_b32 v88, v10 offset:17408                          // 00000000AFB8: D86C4400 5800000A
	ds_read_b32 v89, v10 offset:17472                          // 00000000AFC0: D86C4440 5900000A
	ds_read_b32 v90, v10 offset:17536                          // 00000000AFC8: D86C4480 5A00000A
	ds_read_b32 v91, v10 offset:17600                          // 00000000AFD0: D86C44C0 5B00000A
	ds_read_b32 v92, v10 offset:17664                          // 00000000AFD8: D86C4500 5C00000A
	ds_read_b32 v93, v10 offset:17728                          // 00000000AFE0: D86C4540 5D00000A
	ds_read_b32 v94, v10 offset:17792                          // 00000000AFE8: D86C4580 5E00000A
	ds_read_b32 v95, v10 offset:17856                          // 00000000AFF0: D86C45C0 5F00000A
	buffer_load_dwordx4 a[60:63], v32, s[16:19], 0 offen offset:1024// 00000000AFF8: E05C1400 80843C20
	v_cvt_f32_i32_e32 v192, v192                               // 00000000B000: 7F800BC0
	v_cvt_f32_i32_e32 v193, v193                               // 00000000B004: 7F820BC1
	v_cvt_f32_i32_e32 v194, v194                               // 00000000B008: 7F840BC2
	v_cvt_f32_i32_e32 v195, v195                               // 00000000B00C: 7F860BC3
	v_cvt_f32_i32_e32 v196, v196                               // 00000000B010: 7F880BC4
	v_cvt_f32_i32_e32 v197, v197                               // 00000000B014: 7F8A0BC5
	v_cvt_f32_i32_e32 v198, v198                               // 00000000B018: 7F8C0BC6
	v_cvt_f32_i32_e32 v199, v199                               // 00000000B01C: 7F8E0BC7
	v_mul_f32_e32 v192, v58, v192                              // 00000000B020: 0B81813A
	v_mul_f32_e32 v193, v58, v193                              // 00000000B024: 0B83833A
	v_mul_f32_e32 v194, v58, v194                              // 00000000B028: 0B85853A
	v_mul_f32_e32 v195, v58, v195                              // 00000000B02C: 0B87873A
	v_mul_f32_e32 v196, v58, v196                              // 00000000B030: 0B89893A
	v_mul_f32_e32 v197, v58, v197                              // 00000000B034: 0B8B8B3A
	v_mul_f32_e32 v198, v58, v198                              // 00000000B038: 0B8D8D3A
	v_mul_f32_e32 v199, v58, v199                              // 00000000B03C: 0B8F8F3A
	s_waitcnt lgkmcnt(0)                                       // 00000000B040: BF8CC07F
	v_max3_f32 v62, v80, v81, v62                              // 00000000B044: D1D3003E 04FAA350
	v_max3_f32 v62, v82, v83, v62                              // 00000000B04C: D1D3003E 04FAA752
	v_max3_f32 v62, v84, v85, v62                              // 00000000B054: D1D3003E 04FAAB54
	v_max3_f32 v62, v86, v87, v62                              // 00000000B05C: D1D3003E 04FAAF56
	v_max3_f32 v62, v88, v89, v62                              // 00000000B064: D1D3003E 04FAB358
	v_max3_f32 v62, v90, v91, v62                              // 00000000B06C: D1D3003E 04FAB75A
	v_max3_f32 v62, v92, v93, v62                              // 00000000B074: D1D3003E 04FABB5C
	v_max3_f32 v62, v94, v95, v62                              // 00000000B07C: D1D3003E 04FABF5E
	buffer_load_dwordx4 a[96:99], v37, s[20:23], 0 offen       // 00000000B084: E05C1000 80856025
	v_mov_b32_e32 v41, 0xff800000                              // 00000000B08C: 7E5202FF FF800000
	v_cmp_eq_u32_e64 s[40:41], v41, v14                        // 00000000B094: D0CA0028 00021D29
	s_nop 1                                                    // 00000000B09C: BF800001
	v_max_f32_e32 v18, v62, v14                                // 00000000B0A0: 16241D3E
	v_mul_f32_e32 v67, s64, v18                                // 00000000B0A4: 0A862440
	v_fma_f32 v128, v128, s64, -v67                            // 00000000B0A8: D1CB0080 850C8180
	v_fma_f32 v129, v129, s64, -v67                            // 00000000B0B0: D1CB0081 850C8181
	v_fma_f32 v130, v130, s64, -v67                            // 00000000B0B8: D1CB0082 850C8182
	v_fma_f32 v131, v131, s64, -v67                            // 00000000B0C0: D1CB0083 850C8183
	v_fma_f32 v132, v132, s64, -v67                            // 00000000B0C8: D1CB0084 850C8184
	v_fma_f32 v133, v133, s64, -v67                            // 00000000B0D0: D1CB0085 850C8185
	v_fma_f32 v134, v134, s64, -v67                            // 00000000B0D8: D1CB0086 850C8186
	v_fma_f32 v135, v135, s64, -v67                            // 00000000B0E0: D1CB0087 850C8187
	v_fma_f32 v136, v136, s64, -v67                            // 00000000B0E8: D1CB0088 850C8188
	v_fma_f32 v137, v137, s64, -v67                            // 00000000B0F0: D1CB0089 850C8189
	v_fma_f32 v138, v138, s64, -v67                            // 00000000B0F8: D1CB008A 850C818A
	v_fma_f32 v139, v139, s64, -v67                            // 00000000B100: D1CB008B 850C818B
	v_fma_f32 v140, v140, s64, -v67                            // 00000000B108: D1CB008C 850C818C
	v_fma_f32 v141, v141, s64, -v67                            // 00000000B110: D1CB008D 850C818D
	v_fma_f32 v142, v142, s64, -v67                            // 00000000B118: D1CB008E 850C818E
	v_fma_f32 v143, v143, s64, -v67                            // 00000000B120: D1CB008F 850C818F
	buffer_load_dwordx4 a[100:103], v38, s[20:23], 0 offen     // 00000000B128: E05C1000 80856426
	v_exp_f32_e32 v128, v128                                   // 00000000B130: 7F004180
	v_exp_f32_e32 v129, v129                                   // 00000000B134: 7F024181
	v_exp_f32_e32 v130, v130                                   // 00000000B138: 7F044182
	v_exp_f32_e32 v131, v131                                   // 00000000B13C: 7F064183
	v_exp_f32_e32 v132, v132                                   // 00000000B140: 7F084184
	v_exp_f32_e32 v133, v133                                   // 00000000B144: 7F0A4185
	v_exp_f32_e32 v134, v134                                   // 00000000B148: 7F0C4186
	v_exp_f32_e32 v135, v135                                   // 00000000B14C: 7F0E4187
	v_exp_f32_e32 v136, v136                                   // 00000000B150: 7F104188
	v_exp_f32_e32 v137, v137                                   // 00000000B154: 7F124189
	v_exp_f32_e32 v138, v138                                   // 00000000B158: 7F14418A
	v_exp_f32_e32 v139, v139                                   // 00000000B15C: 7F16418B
	v_exp_f32_e32 v140, v140                                   // 00000000B160: 7F18418C
	v_exp_f32_e32 v141, v141                                   // 00000000B164: 7F1A418D
	v_exp_f32_e32 v142, v142                                   // 00000000B168: 7F1C418E
	v_exp_f32_e32 v143, v143                                   // 00000000B16C: 7F1E418F
	buffer_load_dwordx4 a[104:107], v39, s[20:23], 0 offen     // 00000000B170: E05C1000 80856827
	v_mul_f32_dpp v240, v252, v128 quad_perm:[0,0,0,0] row_mask:0xf bank_mask:0xf// 00000000B178: 0BE100FA FF0000FC
	v_mul_f32_dpp v241, v252, v129 quad_perm:[1,1,1,1] row_mask:0xf bank_mask:0xf// 00000000B180: 0BE302FA FF0055FC
	v_mul_f32_dpp v242, v252, v130 quad_perm:[2,2,2,2] row_mask:0xf bank_mask:0xf// 00000000B188: 0BE504FA FF00AAFC
	v_mul_f32_dpp v243, v252, v131 quad_perm:[3,3,3,3] row_mask:0xf bank_mask:0xf// 00000000B190: 0BE706FA FF00FFFC
	v_mul_f32_dpp v244, v253, v132 quad_perm:[0,0,0,0] row_mask:0xf bank_mask:0xf// 00000000B198: 0BE908FA FF0000FD
	v_mul_f32_dpp v245, v253, v133 quad_perm:[1,1,1,1] row_mask:0xf bank_mask:0xf// 00000000B1A0: 0BEB0AFA FF0055FD
	v_mul_f32_dpp v246, v253, v134 quad_perm:[2,2,2,2] row_mask:0xf bank_mask:0xf// 00000000B1A8: 0BED0CFA FF00AAFD
	v_mul_f32_dpp v247, v253, v135 quad_perm:[3,3,3,3] row_mask:0xf bank_mask:0xf// 00000000B1B0: 0BEF0EFA FF00FFFD
	v_mul_f32_dpp v248, v254, v136 quad_perm:[0,0,0,0] row_mask:0xf bank_mask:0xf// 00000000B1B8: 0BF110FA FF0000FE
	v_mul_f32_dpp v249, v254, v137 quad_perm:[1,1,1,1] row_mask:0xf bank_mask:0xf// 00000000B1C0: 0BF312FA FF0055FE
	v_mul_f32_dpp v250, v254, v138 quad_perm:[2,2,2,2] row_mask:0xf bank_mask:0xf// 00000000B1C8: 0BF514FA FF00AAFE
	v_mul_f32_dpp v251, v254, v139 quad_perm:[3,3,3,3] row_mask:0xf bank_mask:0xf// 00000000B1D0: 0BF716FA FF00FFFE
	v_mul_f32_dpp v252, v255, v140 quad_perm:[0,0,0,0] row_mask:0xf bank_mask:0xf// 00000000B1D8: 0BF918FA FF0000FF
	v_mul_f32_dpp v253, v255, v141 quad_perm:[1,1,1,1] row_mask:0xf bank_mask:0xf// 00000000B1E0: 0BFB1AFA FF0055FF
	v_mul_f32_dpp v254, v255, v142 quad_perm:[2,2,2,2] row_mask:0xf bank_mask:0xf// 00000000B1E8: 0BFD1CFA FF00AAFF
	v_mul_f32_dpp v255, v255, v143 quad_perm:[3,3,3,3] row_mask:0xf bank_mask:0xf// 00000000B1F0: 0BFF1EFA FF00FFFF
	v_mov_b32_e32 v62, 0x358637bd                              // 00000000B1F8: 7E7C02FF 358637BD
	v_max3_f32 v62, |v240|, |v241|, v62                        // 00000000B200: D1D3033E 04FBE3F0
	v_max3_f32 v62, |v242|, |v243|, v62                        // 00000000B208: D1D3033E 04FBE7F2
	v_max3_f32 v62, |v244|, |v245|, v62                        // 00000000B210: D1D3033E 04FBEBF4
	v_max3_f32 v62, |v246|, |v247|, v62                        // 00000000B218: D1D3033E 04FBEFF6
	v_max3_f32 v62, |v248|, |v249|, v62                        // 00000000B220: D1D3033E 04FBF3F8
	v_max3_f32 v62, |v250|, |v251|, v62                        // 00000000B228: D1D3033E 04FBF7FA
	v_max3_f32 v62, |v252|, |v253|, v62                        // 00000000B230: D1D3033E 04FBFBFC
	v_max3_f32 v62, |v254|, |v255|, v62                        // 00000000B238: D1D3033E 04FBFFFE
	buffer_load_dwordx4 a[108:111], v40, s[20:23], 0 offen     // 00000000B240: E05C1000 80856C28
	ds_write_b32 v11, v62 offset:20992                         // 00000000B248: D81A5200 00003E0B
	v_sub_f32_e32 v63, v14, v18                                // 00000000B250: 047E250E
	v_cndmask_b32_e64 v63, v63, 0, s[40:41]                    // 00000000B254: D100003F 00A1013F
	v_mov_b32_e32 v14, v18                                     // 00000000B25C: 7E1C0312
	v_mul_f32_e32 v63, s64, v63                                // 00000000B260: 0A7E7E40
	v_exp_f32_e32 v63, v63                                     // 00000000B264: 7E7E413F
	s_waitcnt lgkmcnt(0)                                       // 00000000B268: BF8CC07F
	s_barrier                                                  // 00000000B26C: BF8A0000
	ds_read_b32 v80, v10 offset:20992                          // 00000000B270: D86C5200 5000000A
	ds_read_b32 v81, v10 offset:21056                          // 00000000B278: D86C5240 5100000A
	ds_read_b32 v82, v10 offset:21120                          // 00000000B280: D86C5280 5200000A
	ds_read_b32 v83, v10 offset:21184                          // 00000000B288: D86C52C0 5300000A
	ds_read_b32 v84, v10 offset:21248                          // 00000000B290: D86C5300 5400000A
	ds_read_b32 v85, v10 offset:21312                          // 00000000B298: D86C5340 5500000A
	ds_read_b32 v86, v10 offset:21376                          // 00000000B2A0: D86C5380 5600000A
	ds_read_b32 v87, v10 offset:21440                          // 00000000B2A8: D86C53C0 5700000A
	ds_read_b32 v88, v10 offset:21504                          // 00000000B2B0: D86C5400 5800000A
	ds_read_b32 v89, v10 offset:21568                          // 00000000B2B8: D86C5440 5900000A
	ds_read_b32 v90, v10 offset:21632                          // 00000000B2C0: D86C5480 5A00000A
	ds_read_b32 v91, v10 offset:21696                          // 00000000B2C8: D86C54C0 5B00000A
	ds_read_b32 v92, v10 offset:21760                          // 00000000B2D0: D86C5500 5C00000A
	ds_read_b32 v93, v10 offset:21824                          // 00000000B2D8: D86C5540 5D00000A
	ds_read_b32 v94, v10 offset:21888                          // 00000000B2E0: D86C5580 5E00000A
	ds_read_b32 v95, v10 offset:21952                          // 00000000B2E8: D86C55C0 5F00000A
	v_mul_f32_e32 v47, v63, v47                                // 00000000B2F0: 0A5E5F3F
	v_mov_b32_e32 v18, v128                                    // 00000000B2F4: 7E240380
	v_add_f32_e32 v18, v129, v18                               // 00000000B2F8: 02242581
	v_add_f32_e32 v18, v130, v18                               // 00000000B2FC: 02242582
	v_add_f32_e32 v18, v131, v18                               // 00000000B300: 02242583
	v_add_f32_e32 v18, v132, v18                               // 00000000B304: 02242584
	v_add_f32_e32 v18, v133, v18                               // 00000000B308: 02242585
	v_add_f32_e32 v18, v134, v18                               // 00000000B30C: 02242586
	v_add_f32_e32 v18, v135, v18                               // 00000000B310: 02242587
	v_add_f32_e32 v18, v136, v18                               // 00000000B314: 02242588
	v_add_f32_e32 v18, v137, v18                               // 00000000B318: 02242589
	v_add_f32_e32 v18, v138, v18                               // 00000000B31C: 0224258A
	v_add_f32_e32 v18, v139, v18                               // 00000000B320: 0224258B
	v_add_f32_e32 v18, v140, v18                               // 00000000B324: 0224258C
	v_add_f32_e32 v18, v141, v18                               // 00000000B328: 0224258D
	v_add_f32_e32 v18, v142, v18                               // 00000000B32C: 0224258E
	v_add_f32_e32 v18, v143, v18                               // 00000000B330: 0224258F
	v_add_f32_e32 v47, v18, v47                                // 00000000B334: 025E5F12
	s_waitcnt lgkmcnt(0)                                       // 00000000B338: BF8CC07F
	v_max3_f32 v62, |v80|, |v81|, v62                          // 00000000B33C: D1D3033E 04FAA350
	v_max3_f32 v62, |v82|, |v83|, v62                          // 00000000B344: D1D3033E 04FAA752
	v_max3_f32 v62, |v84|, |v85|, v62                          // 00000000B34C: D1D3033E 04FAAB54
	v_max3_f32 v62, |v86|, |v87|, v62                          // 00000000B354: D1D3033E 04FAAF56
	v_max3_f32 v62, |v88|, |v89|, v62                          // 00000000B35C: D1D3033E 04FAB358
	v_max3_f32 v62, |v90|, |v91|, v62                          // 00000000B364: D1D3033E 04FAB75A
	v_max3_f32 v62, |v92|, |v93|, v62                          // 00000000B36C: D1D3033E 04FABB5C
	v_max3_f32 v62, |v94|, |v95|, v62                          // 00000000B374: D1D3033E 04FABF5E
	s_nop 2                                                    // 00000000B37C: BF800002
	v_rcp_f32_e32 v62, v62                                     // 00000000B380: 7E7C453E
	s_nop 1                                                    // 00000000B384: BF800001
	v_mul_f32_e32 v62, 0x42fe0000, v62                         // 00000000B388: 0A7C7CFF 42FE0000
	v_mul_f32_e32 v128, v62, v240                              // 00000000B390: 0B01E13E
	v_mul_f32_e32 v129, v62, v241                              // 00000000B394: 0B03E33E
	v_mul_f32_e32 v130, v62, v242                              // 00000000B398: 0B05E53E
	v_mul_f32_e32 v131, v62, v243                              // 00000000B39C: 0B07E73E
	v_mul_f32_e32 v132, v62, v244                              // 00000000B3A0: 0B09E93E
	v_mul_f32_e32 v133, v62, v245                              // 00000000B3A4: 0B0BEB3E
	v_mul_f32_e32 v134, v62, v246                              // 00000000B3A8: 0B0DED3E
	v_mul_f32_e32 v135, v62, v247                              // 00000000B3AC: 0B0FEF3E
	v_mul_f32_e32 v136, v62, v248                              // 00000000B3B0: 0B11F13E
	v_mul_f32_e32 v137, v62, v249                              // 00000000B3B4: 0B13F33E
	v_mul_f32_e32 v138, v62, v250                              // 00000000B3B8: 0B15F53E
	v_mul_f32_e32 v139, v62, v251                              // 00000000B3BC: 0B17F73E
	v_mul_f32_e32 v140, v62, v252                              // 00000000B3C0: 0B19F93E
	v_mul_f32_e32 v141, v62, v253                              // 00000000B3C4: 0B1BFB3E
	v_mul_f32_e32 v142, v62, v254                              // 00000000B3C8: 0B1DFD3E
	v_mul_f32_e32 v143, v62, v255                              // 00000000B3CC: 0B1FFF3E
	v_cvt_i32_f32_e32 v128, v128                               // 00000000B3D0: 7F001180
	v_cvt_i32_f32_e32 v129, v129                               // 00000000B3D4: 7F021181
	v_cvt_i32_f32_e32 v130, v130                               // 00000000B3D8: 7F041182
	v_cvt_i32_f32_e32 v131, v131                               // 00000000B3DC: 7F061183
	v_cvt_i32_f32_e32 v132, v132                               // 00000000B3E0: 7F081184
	v_cvt_i32_f32_e32 v133, v133                               // 00000000B3E4: 7F0A1185
	v_cvt_i32_f32_e32 v134, v134                               // 00000000B3E8: 7F0C1186
	v_cvt_i32_f32_e32 v135, v135                               // 00000000B3EC: 7F0E1187
	v_cvt_i32_f32_e32 v136, v136                               // 00000000B3F0: 7F101188
	v_cvt_i32_f32_e32 v137, v137                               // 00000000B3F4: 7F121189
	v_cvt_i32_f32_e32 v138, v138                               // 00000000B3F8: 7F14118A
	v_cvt_i32_f32_e32 v139, v139                               // 00000000B3FC: 7F16118B
	v_cvt_i32_f32_e32 v140, v140                               // 00000000B400: 7F18118C
	v_cvt_i32_f32_e32 v141, v141                               // 00000000B404: 7F1A118D
	v_cvt_i32_f32_e32 v142, v142                               // 00000000B408: 7F1C118E
	v_cvt_i32_f32_e32 v143, v143                               // 00000000B40C: 7F1E118F
	v_perm_b32 v128, v129, v128, s53                           // 00000000B410: D1ED0080 00D70181
	v_perm_b32 v128, v130, v128, s54                           // 00000000B418: D1ED0080 00DB0182
	v_perm_b32 v128, v131, v128, s55                           // 00000000B420: D1ED0080 00DF0183
	v_perm_b32 v129, v133, v132, s53                           // 00000000B428: D1ED0081 00D70985
	v_perm_b32 v129, v134, v129, s54                           // 00000000B430: D1ED0081 00DB0386
	v_perm_b32 v129, v135, v129, s55                           // 00000000B438: D1ED0081 00DF0387
	v_perm_b32 v130, v137, v136, s53                           // 00000000B440: D1ED0082 00D71189
	v_perm_b32 v130, v138, v130, s54                           // 00000000B448: D1ED0082 00DB058A
	v_perm_b32 v130, v139, v130, s55                           // 00000000B450: D1ED0082 00DF058B
	v_perm_b32 v131, v141, v140, s53                           // 00000000B458: D1ED0083 00D7198D
	v_perm_b32 v131, v142, v131, s54                           // 00000000B460: D1ED0083 00DB078E
	v_perm_b32 v131, v143, v131, s55                           // 00000000B468: D1ED0083 00DF078F
	ds_write_b32 v13, v128 offset:25088                        // 00000000B470: D81A6200 0000800D
	ds_write_b32 v13, v129 offset:26112                        // 00000000B478: D81A6600 0000810D
	ds_write_b32 v13, v130 offset:27136                        // 00000000B480: D81A6A00 0000820D
	ds_write_b32 v13, v131 offset:28160                        // 00000000B488: D81A6E00 0000830D
	v_add_f32_e32 v224, v224, v192                             // 00000000B490: 03C181E0
	v_add_f32_e32 v225, v225, v193                             // 00000000B494: 03C383E1
	v_add_f32_e32 v226, v226, v194                             // 00000000B498: 03C585E2
	v_add_f32_e32 v227, v227, v195                             // 00000000B49C: 03C787E3
	v_add_f32_e32 v228, v228, v196                             // 00000000B4A0: 03C989E4
	v_add_f32_e32 v229, v229, v197                             // 00000000B4A4: 03CB8BE5
	v_add_f32_e32 v230, v230, v198                             // 00000000B4A8: 03CD8DE6
	v_add_f32_e32 v231, v231, v199                             // 00000000B4AC: 03CF8FE7
	v_rcp_f32_e32 v58, v62                                     // 00000000B4B0: 7E74453E
	s_waitcnt lgkmcnt(0)                                       // 00000000B4B4: BF8CC07F
	s_barrier                                                  // 00000000B4B8: BF8A0000
	ds_read_b64 v[128:129], v12 offset:25088                   // 00000000B4BC: D8EC6200 8000000C
	ds_read_b64 v[130:131], v12 offset:25216                   // 00000000B4C4: D8EC6280 8200000C
	ds_read_b64 v[132:133], v12 offset:26112                   // 00000000B4CC: D8EC6600 8400000C
	ds_read_b64 v[134:135], v12 offset:26240                   // 00000000B4D4: D8EC6680 8600000C
	ds_read_b64 v[136:137], v12 offset:27136                   // 00000000B4DC: D8EC6A00 8800000C
	ds_read_b64 v[138:139], v12 offset:27264                   // 00000000B4E4: D8EC6A80 8A00000C
	ds_read_b64 v[140:141], v12 offset:28160                   // 00000000B4EC: D8EC6E00 8C00000C
	ds_read_b64 v[142:143], v12 offset:28288                   // 00000000B4F4: D8EC6E80 8E00000C
	v_mov_b32_dpp v41, v52 row_shr:4 row_mask:0xf bank_mask:0xf// 00000000B4FC: 7E5202FA FF011434
	v_mov_b32_dpp v42, v52 row_shl:4 row_mask:0xf bank_mask:0xf// 00000000B504: 7E5402FA FF010434
	v_cndmask_b32_e64 v248, v52, v41, s[44:45]                 // 00000000B50C: D10000F8 00B25334
	v_cndmask_b32_e64 v249, v42, v52, s[44:45]                 // 00000000B514: D10000F9 00B2692A
	v_mov_b32_dpp v41, v248 row_shr:8 row_mask:0xf bank_mask:0xf// 00000000B51C: 7E5202FA FF0118F8
	v_mov_b32_dpp v42, v248 row_shl:8 row_mask:0xf bank_mask:0xf// 00000000B524: 7E5402FA FF0108F8
	v_mov_b32_dpp v43, v249 row_shr:8 row_mask:0xf bank_mask:0xf// 00000000B52C: 7E5602FA FF0118F9
	v_mov_b32_dpp v44, v249 row_shl:8 row_mask:0xf bank_mask:0xf// 00000000B534: 7E5802FA FF0108F9
	v_mov_b32_e32 v45, v248                                    // 00000000B53C: 7E5A03F8
	v_mov_b32_e32 v46, v249                                    // 00000000B540: 7E5C03F9
	v_cndmask_b32_e64 v248, v45, v41, s[42:43]                 // 00000000B544: D10000F8 00AA532D
	v_cndmask_b32_e64 v250, v45, v42, s[78:79]                 // 00000000B54C: D10000FA 013A552D
	v_cndmask_b32_e64 v249, v46, v43, s[42:43]                 // 00000000B554: D10000F9 00AA572E
	v_cndmask_b32_e64 v251, v46, v44, s[78:79]                 // 00000000B55C: D10000FB 013A592E
	v_mov_b32_dpp v41, v72 row_shr:4 row_mask:0xf bank_mask:0xf// 00000000B564: 7E5202FA FF011448
	v_mov_b32_dpp v42, v72 row_shl:4 row_mask:0xf bank_mask:0xf// 00000000B56C: 7E5402FA FF010448
	v_cndmask_b32_e64 v252, v72, v41, s[44:45]                 // 00000000B574: D10000FC 00B25348
	v_cndmask_b32_e64 v253, v42, v72, s[44:45]                 // 00000000B57C: D10000FD 00B2912A
	v_mov_b32_dpp v41, v252 row_shr:8 row_mask:0xf bank_mask:0xf// 00000000B584: 7E5202FA FF0118FC
	v_mov_b32_dpp v42, v252 row_shl:8 row_mask:0xf bank_mask:0xf// 00000000B58C: 7E5402FA FF0108FC
	v_mov_b32_dpp v43, v253 row_shr:8 row_mask:0xf bank_mask:0xf// 00000000B594: 7E5602FA FF0118FD
	v_mov_b32_dpp v44, v253 row_shl:8 row_mask:0xf bank_mask:0xf// 00000000B59C: 7E5802FA FF0108FD
	v_mov_b32_e32 v45, v252                                    // 00000000B5A4: 7E5A03FC
	v_mov_b32_e32 v46, v253                                    // 00000000B5A8: 7E5C03FD
	v_cndmask_b32_e64 v252, v45, v41, s[42:43]                 // 00000000B5AC: D10000FC 00AA532D
	v_cndmask_b32_e64 v254, v45, v42, s[78:79]                 // 00000000B5B4: D10000FE 013A552D
	v_cndmask_b32_e64 v253, v46, v43, s[42:43]                 // 00000000B5BC: D10000FD 00AA572E
	v_cndmask_b32_e64 v255, v46, v44, s[78:79]                 // 00000000B5C4: D10000FF 013A592E
	v_cvt_f32_i32_e32 v144, v144                               // 00000000B5CC: 7F200B90
	v_cvt_f32_i32_e32 v145, v145                               // 00000000B5D0: 7F220B91
	v_cvt_f32_i32_e32 v146, v146                               // 00000000B5D4: 7F240B92
	v_cvt_f32_i32_e32 v147, v147                               // 00000000B5D8: 7F260B93
	v_cvt_f32_i32_e32 v148, v148                               // 00000000B5DC: 7F280B94
	v_cvt_f32_i32_e32 v149, v149                               // 00000000B5E0: 7F2A0B95
	v_cvt_f32_i32_e32 v150, v150                               // 00000000B5E4: 7F2C0B96
	v_cvt_f32_i32_e32 v151, v151                               // 00000000B5E8: 7F2E0B97
	v_cvt_f32_i32_e32 v152, v152                               // 00000000B5EC: 7F300B98
	v_cvt_f32_i32_e32 v153, v153                               // 00000000B5F0: 7F320B99
	v_cvt_f32_i32_e32 v154, v154                               // 00000000B5F4: 7F340B9A
	v_cvt_f32_i32_e32 v155, v155                               // 00000000B5F8: 7F360B9B
	v_cvt_f32_i32_e32 v156, v156                               // 00000000B5FC: 7F380B9C
	v_cvt_f32_i32_e32 v157, v157                               // 00000000B600: 7F3A0B9D
	v_cvt_f32_i32_e32 v158, v158                               // 00000000B604: 7F3C0B9E
	v_cvt_f32_i32_e32 v159, v159                               // 00000000B608: 7F3E0B9F
	v_mul_f32_e32 v144, v55, v144                              // 00000000B60C: 0B212137
	v_mul_f32_e32 v145, v55, v145                              // 00000000B610: 0B232337
	v_mul_f32_e32 v146, v55, v146                              // 00000000B614: 0B252537
	v_mul_f32_e32 v147, v55, v147                              // 00000000B618: 0B272737
	v_mul_f32_e32 v148, v55, v148                              // 00000000B61C: 0B292937
	v_mul_f32_e32 v149, v55, v149                              // 00000000B620: 0B2B2B37
	v_mul_f32_e32 v150, v55, v150                              // 00000000B624: 0B2D2D37
	v_mul_f32_e32 v151, v55, v151                              // 00000000B628: 0B2F2F37
	v_mul_f32_e32 v152, v55, v152                              // 00000000B62C: 0B313137
	v_mul_f32_e32 v153, v55, v153                              // 00000000B630: 0B333337
	v_mul_f32_e32 v154, v55, v154                              // 00000000B634: 0B353537
	v_mul_f32_e32 v155, v55, v155                              // 00000000B638: 0B373737
	v_mul_f32_e32 v156, v55, v156                              // 00000000B63C: 0B393937
	v_mul_f32_e32 v157, v55, v157                              // 00000000B640: 0B3B3B37
	v_mul_f32_e32 v158, v55, v158                              // 00000000B644: 0B3D3D37
	v_mul_f32_e32 v159, v55, v159                              // 00000000B648: 0B3F3F37
	v_mul_f32_dpp v144, v248, v144 quad_perm:[0,0,0,0] row_mask:0xf bank_mask:0xf// 00000000B64C: 0B2120FA FF0000F8
	v_mul_f32_dpp v145, v248, v145 quad_perm:[1,1,1,1] row_mask:0xf bank_mask:0xf// 00000000B654: 0B2322FA FF0055F8
	v_mul_f32_dpp v146, v248, v146 quad_perm:[2,2,2,2] row_mask:0xf bank_mask:0xf// 00000000B65C: 0B2524FA FF00AAF8
	v_mul_f32_dpp v147, v248, v147 quad_perm:[3,3,3,3] row_mask:0xf bank_mask:0xf// 00000000B664: 0B2726FA FF00FFF8
	v_mul_f32_dpp v148, v249, v148 quad_perm:[0,0,0,0] row_mask:0xf bank_mask:0xf// 00000000B66C: 0B2928FA FF0000F9
	v_mul_f32_dpp v149, v249, v149 quad_perm:[1,1,1,1] row_mask:0xf bank_mask:0xf// 00000000B674: 0B2B2AFA FF0055F9
	v_mul_f32_dpp v150, v249, v150 quad_perm:[2,2,2,2] row_mask:0xf bank_mask:0xf// 00000000B67C: 0B2D2CFA FF00AAF9
	v_mul_f32_dpp v151, v249, v151 quad_perm:[3,3,3,3] row_mask:0xf bank_mask:0xf// 00000000B684: 0B2F2EFA FF00FFF9
	v_mul_f32_dpp v152, v250, v152 quad_perm:[0,0,0,0] row_mask:0xf bank_mask:0xf// 00000000B68C: 0B3130FA FF0000FA
	v_mul_f32_dpp v153, v250, v153 quad_perm:[1,1,1,1] row_mask:0xf bank_mask:0xf// 00000000B694: 0B3332FA FF0055FA
	v_mul_f32_dpp v154, v250, v154 quad_perm:[2,2,2,2] row_mask:0xf bank_mask:0xf// 00000000B69C: 0B3534FA FF00AAFA
	v_mul_f32_dpp v155, v250, v155 quad_perm:[3,3,3,3] row_mask:0xf bank_mask:0xf// 00000000B6A4: 0B3736FA FF00FFFA
	v_mul_f32_dpp v156, v251, v156 quad_perm:[0,0,0,0] row_mask:0xf bank_mask:0xf// 00000000B6AC: 0B3938FA FF0000FB
	v_mul_f32_dpp v157, v251, v157 quad_perm:[1,1,1,1] row_mask:0xf bank_mask:0xf// 00000000B6B4: 0B3B3AFA FF0055FB
	v_mul_f32_dpp v158, v251, v158 quad_perm:[2,2,2,2] row_mask:0xf bank_mask:0xf// 00000000B6BC: 0B3D3CFA FF00AAFB
	v_mul_f32_dpp v159, v251, v159 quad_perm:[3,3,3,3] row_mask:0xf bank_mask:0xf// 00000000B6C4: 0B3F3EFA FF00FFFB
	v_mov_b32_e32 v62, v144                                    // 00000000B6CC: 7E7C0390
	v_max3_f32 v62, v144, v145, v62                            // 00000000B6D0: D1D3003E 04FB2390
	v_max3_f32 v62, v146, v147, v62                            // 00000000B6D8: D1D3003E 04FB2792
	v_max3_f32 v62, v148, v149, v62                            // 00000000B6E0: D1D3003E 04FB2B94
	v_max3_f32 v62, v150, v151, v62                            // 00000000B6E8: D1D3003E 04FB2F96
	v_max3_f32 v62, v152, v153, v62                            // 00000000B6F0: D1D3003E 04FB3398
	v_max3_f32 v62, v154, v155, v62                            // 00000000B6F8: D1D3003E 04FB379A
	v_max3_f32 v62, v156, v157, v62                            // 00000000B700: D1D3003E 04FB3B9C
	v_max3_f32 v62, v158, v159, v62                            // 00000000B708: D1D3003E 04FB3F9E
	ds_write_b32 v11, v62 offset:16896                         // 00000000B710: D81A4200 00003E0B
	v_mul_f32_e32 v232, v64, v232                              // 00000000B718: 0BD1D140
	v_mul_f32_e32 v233, v64, v233                              // 00000000B71C: 0BD3D340
	v_mul_f32_e32 v234, v64, v234                              // 00000000B720: 0BD5D540
	v_mul_f32_e32 v235, v64, v235                              // 00000000B724: 0BD7D740
	v_mul_f32_e32 v236, v64, v236                              // 00000000B728: 0BD9D940
	v_mul_f32_e32 v237, v64, v237                              // 00000000B72C: 0BDBDB40
	v_mul_f32_e32 v238, v64, v238                              // 00000000B730: 0BDDDD40
	v_mul_f32_e32 v239, v64, v239                              // 00000000B734: 0BDFDF40
	s_waitcnt lgkmcnt(0)                                       // 00000000B738: BF8CC07F
	s_barrier                                                  // 00000000B73C: BF8A0000
	ds_read_b32 v80, v10 offset:16896                          // 00000000B740: D86C4200 5000000A
	ds_read_b32 v81, v10 offset:16960                          // 00000000B748: D86C4240 5100000A
	ds_read_b32 v82, v10 offset:17024                          // 00000000B750: D86C4280 5200000A
	ds_read_b32 v83, v10 offset:17088                          // 00000000B758: D86C42C0 5300000A
	ds_read_b32 v84, v10 offset:17152                          // 00000000B760: D86C4300 5400000A
	ds_read_b32 v85, v10 offset:17216                          // 00000000B768: D86C4340 5500000A
	ds_read_b32 v86, v10 offset:17280                          // 00000000B770: D86C4380 5600000A
	ds_read_b32 v87, v10 offset:17344                          // 00000000B778: D86C43C0 5700000A
	ds_read_b32 v88, v10 offset:17408                          // 00000000B780: D86C4400 5800000A
	ds_read_b32 v89, v10 offset:17472                          // 00000000B788: D86C4440 5900000A
	ds_read_b32 v90, v10 offset:17536                          // 00000000B790: D86C4480 5A00000A
	ds_read_b32 v91, v10 offset:17600                          // 00000000B798: D86C44C0 5B00000A
	ds_read_b32 v92, v10 offset:17664                          // 00000000B7A0: D86C4500 5C00000A
	ds_read_b32 v93, v10 offset:17728                          // 00000000B7A8: D86C4540 5D00000A
	ds_read_b32 v94, v10 offset:17792                          // 00000000B7B0: D86C4580 5E00000A
	ds_read_b32 v95, v10 offset:17856                          // 00000000B7B8: D86C45C0 5F00000A
	v_cvt_f32_i32_e32 v200, v200                               // 00000000B7C0: 7F900BC8
	v_cvt_f32_i32_e32 v201, v201                               // 00000000B7C4: 7F920BC9
	v_cvt_f32_i32_e32 v202, v202                               // 00000000B7C8: 7F940BCA
	v_cvt_f32_i32_e32 v203, v203                               // 00000000B7CC: 7F960BCB
	v_cvt_f32_i32_e32 v204, v204                               // 00000000B7D0: 7F980BCC
	v_cvt_f32_i32_e32 v205, v205                               // 00000000B7D4: 7F9A0BCD
	v_cvt_f32_i32_e32 v206, v206                               // 00000000B7D8: 7F9C0BCE
	v_cvt_f32_i32_e32 v207, v207                               // 00000000B7DC: 7F9E0BCF
	v_mul_f32_e32 v200, v59, v200                              // 00000000B7E0: 0B91913B
	v_mul_f32_e32 v201, v59, v201                              // 00000000B7E4: 0B93933B
	v_mul_f32_e32 v202, v59, v202                              // 00000000B7E8: 0B95953B
	v_mul_f32_e32 v203, v59, v203                              // 00000000B7EC: 0B97973B
	v_mul_f32_e32 v204, v59, v204                              // 00000000B7F0: 0B99993B
	v_mul_f32_e32 v205, v59, v205                              // 00000000B7F4: 0B9B9B3B
	v_mul_f32_e32 v206, v59, v206                              // 00000000B7F8: 0B9D9D3B
	v_mul_f32_e32 v207, v59, v207                              // 00000000B7FC: 0B9F9F3B
	s_waitcnt lgkmcnt(0)                                       // 00000000B800: BF8CC07F
	v_max3_f32 v62, v80, v81, v62                              // 00000000B804: D1D3003E 04FAA350
	v_max3_f32 v62, v82, v83, v62                              // 00000000B80C: D1D3003E 04FAA752
	v_max3_f32 v62, v84, v85, v62                              // 00000000B814: D1D3003E 04FAAB54
	v_max3_f32 v62, v86, v87, v62                              // 00000000B81C: D1D3003E 04FAAF56
	v_max3_f32 v62, v88, v89, v62                              // 00000000B824: D1D3003E 04FAB358
	v_max3_f32 v62, v90, v91, v62                              // 00000000B82C: D1D3003E 04FAB75A
	v_max3_f32 v62, v92, v93, v62                              // 00000000B834: D1D3003E 04FABB5C
	v_max3_f32 v62, v94, v95, v62                              // 00000000B83C: D1D3003E 04FABF5E
	v_mov_b32_e32 v41, 0xff800000                              // 00000000B844: 7E5202FF FF800000
	v_cmp_eq_u32_e64 s[40:41], v41, v15                        // 00000000B84C: D0CA0028 00021F29
	s_nop 1                                                    // 00000000B854: BF800001
	v_max_f32_e32 v18, v62, v15                                // 00000000B858: 16241F3E
	v_mul_f32_e32 v67, s64, v18                                // 00000000B85C: 0A862440
	v_fma_f32 v144, v144, s64, -v67                            // 00000000B860: D1CB0090 850C8190
	v_fma_f32 v145, v145, s64, -v67                            // 00000000B868: D1CB0091 850C8191
	v_fma_f32 v146, v146, s64, -v67                            // 00000000B870: D1CB0092 850C8192
	v_fma_f32 v147, v147, s64, -v67                            // 00000000B878: D1CB0093 850C8193
	v_fma_f32 v148, v148, s64, -v67                            // 00000000B880: D1CB0094 850C8194
	v_fma_f32 v149, v149, s64, -v67                            // 00000000B888: D1CB0095 850C8195
	v_fma_f32 v150, v150, s64, -v67                            // 00000000B890: D1CB0096 850C8196
	v_fma_f32 v151, v151, s64, -v67                            // 00000000B898: D1CB0097 850C8197
	v_fma_f32 v152, v152, s64, -v67                            // 00000000B8A0: D1CB0098 850C8198
	v_fma_f32 v153, v153, s64, -v67                            // 00000000B8A8: D1CB0099 850C8199
	v_fma_f32 v154, v154, s64, -v67                            // 00000000B8B0: D1CB009A 850C819A
	v_fma_f32 v155, v155, s64, -v67                            // 00000000B8B8: D1CB009B 850C819B
	v_fma_f32 v156, v156, s64, -v67                            // 00000000B8C0: D1CB009C 850C819C
	v_fma_f32 v157, v157, s64, -v67                            // 00000000B8C8: D1CB009D 850C819D
	v_fma_f32 v158, v158, s64, -v67                            // 00000000B8D0: D1CB009E 850C819E
	v_fma_f32 v159, v159, s64, -v67                            // 00000000B8D8: D1CB009F 850C819F
	v_exp_f32_e32 v144, v144                                   // 00000000B8E0: 7F204190
	v_exp_f32_e32 v145, v145                                   // 00000000B8E4: 7F224191
	v_exp_f32_e32 v146, v146                                   // 00000000B8E8: 7F244192
	v_exp_f32_e32 v147, v147                                   // 00000000B8EC: 7F264193
	v_exp_f32_e32 v148, v148                                   // 00000000B8F0: 7F284194
	v_exp_f32_e32 v149, v149                                   // 00000000B8F4: 7F2A4195
	v_exp_f32_e32 v150, v150                                   // 00000000B8F8: 7F2C4196
	v_exp_f32_e32 v151, v151                                   // 00000000B8FC: 7F2E4197
	v_exp_f32_e32 v152, v152                                   // 00000000B900: 7F304198
	v_exp_f32_e32 v153, v153                                   // 00000000B904: 7F324199
	v_exp_f32_e32 v154, v154                                   // 00000000B908: 7F34419A
	v_exp_f32_e32 v155, v155                                   // 00000000B90C: 7F36419B
	v_exp_f32_e32 v156, v156                                   // 00000000B910: 7F38419C
	v_exp_f32_e32 v157, v157                                   // 00000000B914: 7F3A419D
	v_exp_f32_e32 v158, v158                                   // 00000000B918: 7F3C419E
	v_exp_f32_e32 v159, v159                                   // 00000000B91C: 7F3E419F
	v_mul_f32_dpp v240, v252, v144 quad_perm:[0,0,0,0] row_mask:0xf bank_mask:0xf// 00000000B920: 0BE120FA FF0000FC
	v_mul_f32_dpp v241, v252, v145 quad_perm:[1,1,1,1] row_mask:0xf bank_mask:0xf// 00000000B928: 0BE322FA FF0055FC
	v_mul_f32_dpp v242, v252, v146 quad_perm:[2,2,2,2] row_mask:0xf bank_mask:0xf// 00000000B930: 0BE524FA FF00AAFC
	v_mul_f32_dpp v243, v252, v147 quad_perm:[3,3,3,3] row_mask:0xf bank_mask:0xf// 00000000B938: 0BE726FA FF00FFFC
	v_mul_f32_dpp v244, v253, v148 quad_perm:[0,0,0,0] row_mask:0xf bank_mask:0xf// 00000000B940: 0BE928FA FF0000FD
	v_mul_f32_dpp v245, v253, v149 quad_perm:[1,1,1,1] row_mask:0xf bank_mask:0xf// 00000000B948: 0BEB2AFA FF0055FD
	v_mul_f32_dpp v246, v253, v150 quad_perm:[2,2,2,2] row_mask:0xf bank_mask:0xf// 00000000B950: 0BED2CFA FF00AAFD
	v_mul_f32_dpp v247, v253, v151 quad_perm:[3,3,3,3] row_mask:0xf bank_mask:0xf// 00000000B958: 0BEF2EFA FF00FFFD
	v_mul_f32_dpp v248, v254, v152 quad_perm:[0,0,0,0] row_mask:0xf bank_mask:0xf// 00000000B960: 0BF130FA FF0000FE
	v_mul_f32_dpp v249, v254, v153 quad_perm:[1,1,1,1] row_mask:0xf bank_mask:0xf// 00000000B968: 0BF332FA FF0055FE
	v_mul_f32_dpp v250, v254, v154 quad_perm:[2,2,2,2] row_mask:0xf bank_mask:0xf// 00000000B970: 0BF534FA FF00AAFE
	v_mul_f32_dpp v251, v254, v155 quad_perm:[3,3,3,3] row_mask:0xf bank_mask:0xf// 00000000B978: 0BF736FA FF00FFFE
	v_mul_f32_dpp v252, v255, v156 quad_perm:[0,0,0,0] row_mask:0xf bank_mask:0xf// 00000000B980: 0BF938FA FF0000FF
	v_mul_f32_dpp v253, v255, v157 quad_perm:[1,1,1,1] row_mask:0xf bank_mask:0xf// 00000000B988: 0BFB3AFA FF0055FF
	v_mul_f32_dpp v254, v255, v158 quad_perm:[2,2,2,2] row_mask:0xf bank_mask:0xf// 00000000B990: 0BFD3CFA FF00AAFF
	v_mul_f32_dpp v255, v255, v159 quad_perm:[3,3,3,3] row_mask:0xf bank_mask:0xf// 00000000B998: 0BFF3EFA FF00FFFF
	v_mov_b32_e32 v62, 0x358637bd                              // 00000000B9A0: 7E7C02FF 358637BD
	v_max3_f32 v62, |v240|, |v241|, v62                        // 00000000B9A8: D1D3033E 04FBE3F0
	v_max3_f32 v62, |v242|, |v243|, v62                        // 00000000B9B0: D1D3033E 04FBE7F2
	v_max3_f32 v62, |v244|, |v245|, v62                        // 00000000B9B8: D1D3033E 04FBEBF4
	v_max3_f32 v62, |v246|, |v247|, v62                        // 00000000B9C0: D1D3033E 04FBEFF6
	v_max3_f32 v62, |v248|, |v249|, v62                        // 00000000B9C8: D1D3033E 04FBF3F8
	v_max3_f32 v62, |v250|, |v251|, v62                        // 00000000B9D0: D1D3033E 04FBF7FA
	v_max3_f32 v62, |v252|, |v253|, v62                        // 00000000B9D8: D1D3033E 04FBFBFC
	v_max3_f32 v62, |v254|, |v255|, v62                        // 00000000B9E0: D1D3033E 04FBFFFE
	ds_write_b32 v11, v62 offset:20992                         // 00000000B9E8: D81A5200 00003E0B
	v_sub_f32_e32 v64, v15, v18                                // 00000000B9F0: 0480250F
	v_cndmask_b32_e64 v64, v64, 0, s[40:41]                    // 00000000B9F4: D1000040 00A10140
	v_mov_b32_e32 v15, v18                                     // 00000000B9FC: 7E1E0312
	v_mul_f32_e32 v64, s64, v64                                // 00000000BA00: 0A808040
	v_exp_f32_e32 v64, v64                                     // 00000000BA04: 7E804140
	s_waitcnt lgkmcnt(0)                                       // 00000000BA08: BF8CC07F
	s_barrier                                                  // 00000000BA0C: BF8A0000
	ds_read_b32 v80, v10 offset:20992                          // 00000000BA10: D86C5200 5000000A
	ds_read_b32 v81, v10 offset:21056                          // 00000000BA18: D86C5240 5100000A
	ds_read_b32 v82, v10 offset:21120                          // 00000000BA20: D86C5280 5200000A
	ds_read_b32 v83, v10 offset:21184                          // 00000000BA28: D86C52C0 5300000A
	ds_read_b32 v84, v10 offset:21248                          // 00000000BA30: D86C5300 5400000A
	ds_read_b32 v85, v10 offset:21312                          // 00000000BA38: D86C5340 5500000A
	ds_read_b32 v86, v10 offset:21376                          // 00000000BA40: D86C5380 5600000A
	ds_read_b32 v87, v10 offset:21440                          // 00000000BA48: D86C53C0 5700000A
	ds_read_b32 v88, v10 offset:21504                          // 00000000BA50: D86C5400 5800000A
	ds_read_b32 v89, v10 offset:21568                          // 00000000BA58: D86C5440 5900000A
	ds_read_b32 v90, v10 offset:21632                          // 00000000BA60: D86C5480 5A00000A
	ds_read_b32 v91, v10 offset:21696                          // 00000000BA68: D86C54C0 5B00000A
	ds_read_b32 v92, v10 offset:21760                          // 00000000BA70: D86C5500 5C00000A
	ds_read_b32 v93, v10 offset:21824                          // 00000000BA78: D86C5540 5D00000A
	ds_read_b32 v94, v10 offset:21888                          // 00000000BA80: D86C5580 5E00000A
	ds_read_b32 v95, v10 offset:21952                          // 00000000BA88: D86C55C0 5F00000A
	v_mul_f32_e32 v48, v64, v48                                // 00000000BA90: 0A606140
	v_mov_b32_e32 v18, v144                                    // 00000000BA94: 7E240390
	v_add_f32_e32 v18, v145, v18                               // 00000000BA98: 02242591
	v_add_f32_e32 v18, v146, v18                               // 00000000BA9C: 02242592
	v_add_f32_e32 v18, v147, v18                               // 00000000BAA0: 02242593
	v_add_f32_e32 v18, v148, v18                               // 00000000BAA4: 02242594
	v_add_f32_e32 v18, v149, v18                               // 00000000BAA8: 02242595
	v_add_f32_e32 v18, v150, v18                               // 00000000BAAC: 02242596
	v_add_f32_e32 v18, v151, v18                               // 00000000BAB0: 02242597
	v_add_f32_e32 v18, v152, v18                               // 00000000BAB4: 02242598
	v_add_f32_e32 v18, v153, v18                               // 00000000BAB8: 02242599
	v_add_f32_e32 v18, v154, v18                               // 00000000BABC: 0224259A
	v_add_f32_e32 v18, v155, v18                               // 00000000BAC0: 0224259B
	v_add_f32_e32 v18, v156, v18                               // 00000000BAC4: 0224259C
	v_add_f32_e32 v18, v157, v18                               // 00000000BAC8: 0224259D
	v_add_f32_e32 v18, v158, v18                               // 00000000BACC: 0224259E
	v_add_f32_e32 v18, v159, v18                               // 00000000BAD0: 0224259F
	v_add_f32_e32 v48, v18, v48                                // 00000000BAD4: 02606112
	s_waitcnt lgkmcnt(0)                                       // 00000000BAD8: BF8CC07F
	v_max3_f32 v62, |v80|, |v81|, v62                          // 00000000BADC: D1D3033E 04FAA350
	v_max3_f32 v62, |v82|, |v83|, v62                          // 00000000BAE4: D1D3033E 04FAA752
	v_max3_f32 v62, |v84|, |v85|, v62                          // 00000000BAEC: D1D3033E 04FAAB54
	v_max3_f32 v62, |v86|, |v87|, v62                          // 00000000BAF4: D1D3033E 04FAAF56
	v_max3_f32 v62, |v88|, |v89|, v62                          // 00000000BAFC: D1D3033E 04FAB358
	v_max3_f32 v62, |v90|, |v91|, v62                          // 00000000BB04: D1D3033E 04FAB75A
	v_max3_f32 v62, |v92|, |v93|, v62                          // 00000000BB0C: D1D3033E 04FABB5C
	v_max3_f32 v62, |v94|, |v95|, v62                          // 00000000BB14: D1D3033E 04FABF5E
	s_nop 2                                                    // 00000000BB1C: BF800002
	v_rcp_f32_e32 v62, v62                                     // 00000000BB20: 7E7C453E
	s_nop 1                                                    // 00000000BB24: BF800001
	v_mul_f32_e32 v62, 0x42fe0000, v62                         // 00000000BB28: 0A7C7CFF 42FE0000
	v_mul_f32_e32 v144, v62, v240                              // 00000000BB30: 0B21E13E
	v_mul_f32_e32 v145, v62, v241                              // 00000000BB34: 0B23E33E
	v_mul_f32_e32 v146, v62, v242                              // 00000000BB38: 0B25E53E
	v_mul_f32_e32 v147, v62, v243                              // 00000000BB3C: 0B27E73E
	v_mul_f32_e32 v148, v62, v244                              // 00000000BB40: 0B29E93E
	v_mul_f32_e32 v149, v62, v245                              // 00000000BB44: 0B2BEB3E
	v_mul_f32_e32 v150, v62, v246                              // 00000000BB48: 0B2DED3E
	v_mul_f32_e32 v151, v62, v247                              // 00000000BB4C: 0B2FEF3E
	v_mul_f32_e32 v152, v62, v248                              // 00000000BB50: 0B31F13E
	v_mul_f32_e32 v153, v62, v249                              // 00000000BB54: 0B33F33E
	v_mul_f32_e32 v154, v62, v250                              // 00000000BB58: 0B35F53E
	v_mul_f32_e32 v155, v62, v251                              // 00000000BB5C: 0B37F73E
	v_mul_f32_e32 v156, v62, v252                              // 00000000BB60: 0B39F93E
	v_mul_f32_e32 v157, v62, v253                              // 00000000BB64: 0B3BFB3E
	v_mul_f32_e32 v158, v62, v254                              // 00000000BB68: 0B3DFD3E
	v_mul_f32_e32 v159, v62, v255                              // 00000000BB6C: 0B3FFF3E
	v_cvt_i32_f32_e32 v144, v144                               // 00000000BB70: 7F201190
	v_cvt_i32_f32_e32 v145, v145                               // 00000000BB74: 7F221191
	v_cvt_i32_f32_e32 v146, v146                               // 00000000BB78: 7F241192
	v_cvt_i32_f32_e32 v147, v147                               // 00000000BB7C: 7F261193
	v_cvt_i32_f32_e32 v148, v148                               // 00000000BB80: 7F281194
	v_cvt_i32_f32_e32 v149, v149                               // 00000000BB84: 7F2A1195
	v_cvt_i32_f32_e32 v150, v150                               // 00000000BB88: 7F2C1196
	v_cvt_i32_f32_e32 v151, v151                               // 00000000BB8C: 7F2E1197
	v_cvt_i32_f32_e32 v152, v152                               // 00000000BB90: 7F301198
	v_cvt_i32_f32_e32 v153, v153                               // 00000000BB94: 7F321199
	v_cvt_i32_f32_e32 v154, v154                               // 00000000BB98: 7F34119A
	v_cvt_i32_f32_e32 v155, v155                               // 00000000BB9C: 7F36119B
	v_cvt_i32_f32_e32 v156, v156                               // 00000000BBA0: 7F38119C
	v_cvt_i32_f32_e32 v157, v157                               // 00000000BBA4: 7F3A119D
	v_cvt_i32_f32_e32 v158, v158                               // 00000000BBA8: 7F3C119E
	v_cvt_i32_f32_e32 v159, v159                               // 00000000BBAC: 7F3E119F
	v_perm_b32 v144, v145, v144, s53                           // 00000000BBB0: D1ED0090 00D72191
	v_perm_b32 v144, v146, v144, s54                           // 00000000BBB8: D1ED0090 00DB2192
	v_perm_b32 v144, v147, v144, s55                           // 00000000BBC0: D1ED0090 00DF2193
	v_perm_b32 v145, v149, v148, s53                           // 00000000BBC8: D1ED0091 00D72995
	v_perm_b32 v145, v150, v145, s54                           // 00000000BBD0: D1ED0091 00DB2396
	v_perm_b32 v145, v151, v145, s55                           // 00000000BBD8: D1ED0091 00DF2397
	v_perm_b32 v146, v153, v152, s53                           // 00000000BBE0: D1ED0092 00D73199
	v_perm_b32 v146, v154, v146, s54                           // 00000000BBE8: D1ED0092 00DB259A
	v_perm_b32 v146, v155, v146, s55                           // 00000000BBF0: D1ED0092 00DF259B
	v_perm_b32 v147, v157, v156, s53                           // 00000000BBF8: D1ED0093 00D7399D
	v_perm_b32 v147, v158, v147, s54                           // 00000000BC00: D1ED0093 00DB279E
	v_perm_b32 v147, v159, v147, s55                           // 00000000BC08: D1ED0093 00DF279F
	ds_write_b32 v13, v144 offset:29184                        // 00000000BC10: D81A7200 0000900D
	ds_write_b32 v13, v145 offset:30208                        // 00000000BC18: D81A7600 0000910D
	ds_write_b32 v13, v146 offset:31232                        // 00000000BC20: D81A7A00 0000920D
	ds_write_b32 v13, v147 offset:32256                        // 00000000BC28: D81A7E00 0000930D
	v_add_f32_e32 v232, v232, v200                             // 00000000BC30: 03D191E8
	v_add_f32_e32 v233, v233, v201                             // 00000000BC34: 03D393E9
	v_add_f32_e32 v234, v234, v202                             // 00000000BC38: 03D595EA
	v_add_f32_e32 v235, v235, v203                             // 00000000BC3C: 03D797EB
	v_add_f32_e32 v236, v236, v204                             // 00000000BC40: 03D999EC
	v_add_f32_e32 v237, v237, v205                             // 00000000BC44: 03DB9BED
	v_add_f32_e32 v238, v238, v206                             // 00000000BC48: 03DD9DEE
	v_add_f32_e32 v239, v239, v207                             // 00000000BC4C: 03DF9FEF
	v_rcp_f32_e32 v59, v62                                     // 00000000BC50: 7E76453E
	s_waitcnt lgkmcnt(0)                                       // 00000000BC54: BF8CC07F
	s_barrier                                                  // 00000000BC58: BF8A0000
	ds_read_b64 v[144:145], v12 offset:29184                   // 00000000BC5C: D8EC7200 9000000C
	ds_read_b64 v[146:147], v12 offset:29312                   // 00000000BC64: D8EC7280 9200000C
	ds_read_b64 v[148:149], v12 offset:30208                   // 00000000BC6C: D8EC7600 9400000C
	ds_read_b64 v[150:151], v12 offset:30336                   // 00000000BC74: D8EC7680 9600000C
	ds_read_b64 v[152:153], v12 offset:31232                   // 00000000BC7C: D8EC7A00 9800000C
	ds_read_b64 v[154:155], v12 offset:31360                   // 00000000BC84: D8EC7A80 9A00000C
	ds_read_b64 v[156:157], v12 offset:32256                   // 00000000BC8C: D8EC7E00 9C00000C
	ds_read_b64 v[158:159], v12 offset:32384                   // 00000000BC94: D8EC7E80 9E00000C
	s_waitcnt vmcnt(15)                                        // 00000000BC9C: BF8C0F7F
	v_mfma_i32_16x16x32_i8 v[192:195], a[64:65], v[128:129], 0 // 00000000BCA0: D3D700C0 0A030140
	v_mfma_i32_16x16x32_i8 v[192:195], a[66:67], v[130:131], v[192:195]// 00000000BCA8: D3D700C0 0F030542
	buffer_load_dwordx4 a[112:115], v37, s[20:23], 0 offen offset:1024// 00000000BCB0: E05C1400 80857025
	v_mfma_i32_16x16x32_i8 v[192:195], a[68:69], v[132:133], v[192:195]// 00000000BCB8: D3D700C0 0F030944
	v_mfma_i32_16x16x32_i8 v[192:195], a[70:71], v[134:135], v[192:195]// 00000000BCC0: D3D700C0 0F030D46
	v_mfma_i32_16x16x32_i8 v[192:195], a[72:73], v[136:137], v[192:195]// 00000000BCC8: D3D700C0 0F031148
	v_mfma_i32_16x16x32_i8 v[192:195], a[74:75], v[138:139], v[192:195]// 00000000BCD0: D3D700C0 0F03154A
	buffer_load_dwordx4 a[116:119], v38, s[20:23], 0 offen offset:1024// 00000000BCD8: E05C1400 80857426
	v_mfma_i32_16x16x32_i8 v[192:195], a[76:77], v[140:141], v[192:195]// 00000000BCE0: D3D700C0 0F03194C
	v_mfma_i32_16x16x32_i8 v[192:195], a[78:79], v[142:143], v[192:195]// 00000000BCE8: D3D700C0 0F031D4E
	v_mfma_i32_16x16x32_i8 v[196:199], a[80:81], v[128:129], 0 // 00000000BCF0: D3D700C4 0A030150
	v_mfma_i32_16x16x32_i8 v[196:199], a[82:83], v[130:131], v[196:199]// 00000000BCF8: D3D700C4 0F130552
	buffer_load_dwordx4 a[120:123], v39, s[20:23], 0 offen offset:1024// 00000000BD00: E05C1400 80857827
	v_mfma_i32_16x16x32_i8 v[196:199], a[84:85], v[132:133], v[196:199]// 00000000BD08: D3D700C4 0F130954
	v_mfma_i32_16x16x32_i8 v[196:199], a[86:87], v[134:135], v[196:199]// 00000000BD10: D3D700C4 0F130D56
	v_mfma_i32_16x16x32_i8 v[196:199], a[88:89], v[136:137], v[196:199]// 00000000BD18: D3D700C4 0F131158
	v_mfma_i32_16x16x32_i8 v[196:199], a[90:91], v[138:139], v[196:199]// 00000000BD20: D3D700C4 0F13155A
	buffer_load_dwordx4 a[124:127], v40, s[20:23], 0 offen offset:1024// 00000000BD28: E05C1400 80857C28
	v_mfma_i32_16x16x32_i8 v[196:199], a[92:93], v[140:141], v[196:199]// 00000000BD30: D3D700C4 0F13195C
	s_lshr_b32 s57, s70, 4                                     // 00000000BD38: 8F398446
	s_add_u32 s57, 48, s57                                     // 00000000BD3C: 803939B0
	v_mfma_i32_16x16x32_i8 v[196:199], a[94:95], v[142:143], v[196:199]// 00000000BD40: D3D700C4 0F131D5E
	s_cmp_ge_u32 s57, s73                                      // 00000000BD48: BF094939
	s_cselect_b32 s56, 0, s56                                  // 00000000BD4C: 85383880
	v_mfma_i32_16x16x32_i8 v[200:203], a[64:65], v[144:145], 0 // 00000000BD50: D3D700C8 0A032140
	v_mfma_i32_16x16x32_i8 v[200:203], a[66:67], v[146:147], v[200:203]// 00000000BD58: D3D700C8 0F232542
	v_mfma_i32_16x16x32_i8 v[200:203], a[68:69], v[148:149], v[200:203]// 00000000BD60: D3D700C8 0F232944
	v_mfma_i32_16x16x32_i8 v[200:203], a[70:71], v[150:151], v[200:203]// 00000000BD68: D3D700C8 0F232D46
	v_mfma_i32_16x16x32_i8 v[200:203], a[72:73], v[152:153], v[200:203]// 00000000BD70: D3D700C8 0F233148
	v_mfma_i32_16x16x32_i8 v[200:203], a[74:75], v[154:155], v[200:203]// 00000000BD78: D3D700C8 0F23354A
	v_mfma_i32_16x16x32_i8 v[200:203], a[76:77], v[156:157], v[200:203]// 00000000BD80: D3D700C8 0F23394C
	v_mfma_i32_16x16x32_i8 v[200:203], a[78:79], v[158:159], v[200:203]// 00000000BD88: D3D700C8 0F233D4E
	v_mfma_i32_16x16x32_i8 v[204:207], a[80:81], v[144:145], 0 // 00000000BD90: D3D700CC 0A032150
	v_mfma_i32_16x16x32_i8 v[204:207], a[82:83], v[146:147], v[204:207]// 00000000BD98: D3D700CC 0F332552
	v_mfma_i32_16x16x32_i8 v[204:207], a[84:85], v[148:149], v[204:207]// 00000000BDA0: D3D700CC 0F332954
	v_mfma_i32_16x16x32_i8 v[204:207], a[86:87], v[150:151], v[204:207]// 00000000BDA8: D3D700CC 0F332D56
	v_mfma_i32_16x16x32_i8 v[204:207], a[88:89], v[152:153], v[204:207]// 00000000BDB0: D3D700CC 0F333158
	v_mfma_i32_16x16x32_i8 v[204:207], a[90:91], v[154:155], v[204:207]// 00000000BDB8: D3D700CC 0F33355A
	v_mfma_i32_16x16x32_i8 v[204:207], a[92:93], v[156:157], v[204:207]// 00000000BDC0: D3D700CC 0F33395C
	v_mfma_i32_16x16x32_i8 v[204:207], a[94:95], v[158:159], v[204:207]// 00000000BDC8: D3D700CC 0F333D5E
	v_add_u32_e32 v1, s56, v1                                  // 00000000BDD0: 68020238
	s_addk_i32 s70, 0x100                                      // 00000000BDD4: B7460100
	s_cmp_lt_i32 s70, s71                                      // 00000000BDD8: BF044746
	s_cbranch_scc0 label_2B97                                  // 00000000BDDC: BF84049F
	s_waitcnt vmcnt(8) lgkmcnt(0)                              // 00000000BDE0: BF8C0078
	v_mul_u32_u24_dpp v41, v19, v68 row_newbcast:0 row_mask:0xf bank_mask:0xf// 00000000BDE4: 105288FA FF015013
	v_mul_u32_u24_dpp v42, v19, v68 row_newbcast:4 row_mask:0xf bank_mask:0xf// 00000000BDEC: 105488FA FF015413
	v_mul_u32_u24_dpp v43, v19, v68 row_newbcast:8 row_mask:0xf bank_mask:0xf// 00000000BDF4: 105688FA FF015813
	v_mul_u32_u24_dpp v44, v19, v68 row_newbcast:12 row_mask:0xf bank_mask:0xf// 00000000BDFC: 105888FA FF015C13
	v_add_u32_e32 v25, v41, v6                                 // 00000000BE04: 68320D29
	v_add_u32_e32 v26, v42, v6                                 // 00000000BE08: 68340D2A
	v_add_u32_e32 v27, v43, v6                                 // 00000000BE0C: 68360D2B
	v_add_u32_e32 v28, v44, v6                                 // 00000000BE10: 68380D2C
	v_mul_u32_u24_dpp v41, v19, v78 quad_perm:[0,0,0,0] row_mask:0xf bank_mask:0xf// 00000000BE14: 10529CFA FF000013
	v_add_u32_e32 v2, v41, v74                                 // 00000000BE1C: 68049529
	v_mul_u32_u24_dpp v41, v19, v78 quad_perm:[0,0,0,0] row_mask:0xf bank_mask:0xf// 00000000BE20: 10529CFA FF000013
	v_add_u32_e32 v70, v41, v75                                // 00000000BE28: 688C9729
	v_mfma_i32_16x16x32_i8 v[128:131], a[32:33], v[96:97], 0   // 00000000BE2C: D3D70080 0A02C120
	v_mfma_i32_16x16x32_i8 v[128:131], a[34:35], v[98:99], v[128:131]// 00000000BE34: D3D70080 0E02C522
	buffer_load_dwordx4 a[0:3], v25, s[16:19], 0 offen         // 00000000BE3C: E05C1000 80840019
	v_mfma_i32_16x16x32_i8 v[128:131], a[36:37], v[100:101], v[128:131]// 00000000BE44: D3D70080 0E02C924
	v_mfma_i32_16x16x32_i8 v[128:131], a[38:39], v[102:103], v[128:131]// 00000000BE4C: D3D70080 0E02CD26
	buffer_load_dword v20, v1, s[24:27], 0 offen               // 00000000BE54: E0501000 80061401
	v_mfma_i32_16x16x32_i8 v[132:135], a[40:41], v[96:97], 0   // 00000000BE5C: D3D70084 0A02C128
	v_mfma_i32_16x16x32_i8 v[132:135], a[42:43], v[98:99], v[132:135]// 00000000BE64: D3D70084 0E12C52A
	buffer_load_dwordx4 a[4:7], v25, s[16:19], 0 offen offset:1024// 00000000BE6C: E05C1400 80840419
	v_mfma_i32_16x16x32_i8 v[132:135], a[44:45], v[100:101], v[132:135]// 00000000BE74: D3D70084 0E12C92C
	v_mfma_i32_16x16x32_i8 v[132:135], a[46:47], v[102:103], v[132:135]// 00000000BE7C: D3D70084 0E12CD2E
	v_mfma_i32_16x16x32_i8 v[136:139], a[48:49], v[96:97], 0   // 00000000BE84: D3D70088 0A02C130
	v_mfma_i32_16x16x32_i8 v[136:139], a[50:51], v[98:99], v[136:139]// 00000000BE8C: D3D70088 0E22C532
	buffer_load_dwordx4 a[8:11], v26, s[16:19], 0 offen        // 00000000BE94: E05C1000 8084081A
	v_mfma_i32_16x16x32_i8 v[136:139], a[52:53], v[100:101], v[136:139]// 00000000BE9C: D3D70088 0E22C934
	v_mfma_i32_16x16x32_i8 v[136:139], a[54:55], v[102:103], v[136:139]// 00000000BEA4: D3D70088 0E22CD36
	v_mfma_i32_16x16x32_i8 v[140:143], a[56:57], v[96:97], 0   // 00000000BEAC: D3D7008C 0A02C138
	v_mfma_i32_16x16x32_i8 v[140:143], a[58:59], v[98:99], v[140:143]// 00000000BEB4: D3D7008C 0E32C53A
	buffer_load_dwordx4 a[12:15], v26, s[16:19], 0 offen offset:1024// 00000000BEBC: E05C1400 80840C1A
	v_mfma_i32_16x16x32_i8 v[140:143], a[60:61], v[100:101], v[140:143]// 00000000BEC4: D3D7008C 0E32C93C
	v_mfma_i32_16x16x32_i8 v[140:143], a[62:63], v[102:103], v[140:143]// 00000000BECC: D3D7008C 0E32CD3E
	v_mfma_i32_16x16x32_i8 v[144:147], a[32:33], v[104:105], 0 // 00000000BED4: D3D70090 0A02D120
	v_mfma_i32_16x16x32_i8 v[144:147], a[34:35], v[106:107], v[144:147]// 00000000BEDC: D3D70090 0E42D522
	v_mfma_i32_16x16x32_i8 v[144:147], a[36:37], v[108:109], v[144:147]// 00000000BEE4: D3D70090 0E42D924
	v_mfma_i32_16x16x32_i8 v[144:147], a[38:39], v[110:111], v[144:147]// 00000000BEEC: D3D70090 0E42DD26
	v_mfma_i32_16x16x32_i8 v[148:151], a[40:41], v[104:105], 0 // 00000000BEF4: D3D70094 0A02D128
	v_mfma_i32_16x16x32_i8 v[148:151], a[42:43], v[106:107], v[148:151]// 00000000BEFC: D3D70094 0E52D52A
	v_mfma_i32_16x16x32_i8 v[148:151], a[44:45], v[108:109], v[148:151]// 00000000BF04: D3D70094 0E52D92C
	v_mfma_i32_16x16x32_i8 v[148:151], a[46:47], v[110:111], v[148:151]// 00000000BF0C: D3D70094 0E52DD2E
	v_mfma_i32_16x16x32_i8 v[152:155], a[48:49], v[104:105], 0 // 00000000BF14: D3D70098 0A02D130
	v_mfma_i32_16x16x32_i8 v[152:155], a[50:51], v[106:107], v[152:155]// 00000000BF1C: D3D70098 0E62D532
	v_mfma_i32_16x16x32_i8 v[152:155], a[52:53], v[108:109], v[152:155]// 00000000BF24: D3D70098 0E62D934
	v_mfma_i32_16x16x32_i8 v[152:155], a[54:55], v[110:111], v[152:155]// 00000000BF2C: D3D70098 0E62DD36
	v_mfma_i32_16x16x32_i8 v[156:159], a[56:57], v[104:105], 0 // 00000000BF34: D3D7009C 0A02D138
	v_mfma_i32_16x16x32_i8 v[156:159], a[58:59], v[106:107], v[156:159]// 00000000BF3C: D3D7009C 0E72D53A
	v_mfma_i32_16x16x32_i8 v[156:159], a[60:61], v[108:109], v[156:159]// 00000000BF44: D3D7009C 0E72D93C
	v_mfma_i32_16x16x32_i8 v[156:159], a[62:63], v[110:111], v[156:159]// 00000000BF4C: D3D7009C 0E72DD3E
	buffer_load_dword v52, v2, s[32:35], 0 offen               // 00000000BF54: E0501000 80083402
	v_mov_b32_dpp v41, v53 row_shr:4 row_mask:0xf bank_mask:0xf// 00000000BF5C: 7E5202FA FF011435
	v_mov_b32_dpp v42, v53 row_shl:4 row_mask:0xf bank_mask:0xf// 00000000BF64: 7E5402FA FF010435
	v_cndmask_b32_e64 v248, v53, v41, s[44:45]                 // 00000000BF6C: D10000F8 00B25335
	v_cndmask_b32_e64 v249, v42, v53, s[44:45]                 // 00000000BF74: D10000F9 00B26B2A
	v_mov_b32_dpp v41, v248 row_shr:8 row_mask:0xf bank_mask:0xf// 00000000BF7C: 7E5202FA FF0118F8
	v_mov_b32_dpp v42, v248 row_shl:8 row_mask:0xf bank_mask:0xf// 00000000BF84: 7E5402FA FF0108F8
	v_mov_b32_dpp v43, v249 row_shr:8 row_mask:0xf bank_mask:0xf// 00000000BF8C: 7E5602FA FF0118F9
	v_mov_b32_dpp v44, v249 row_shl:8 row_mask:0xf bank_mask:0xf// 00000000BF94: 7E5802FA FF0108F9
	v_mov_b32_e32 v45, v248                                    // 00000000BF9C: 7E5A03F8
	v_mov_b32_e32 v46, v249                                    // 00000000BFA0: 7E5C03F9
	v_cndmask_b32_e64 v248, v45, v41, s[42:43]                 // 00000000BFA4: D10000F8 00AA532D
	v_cndmask_b32_e64 v250, v45, v42, s[78:79]                 // 00000000BFAC: D10000FA 013A552D
	v_cndmask_b32_e64 v249, v46, v43, s[42:43]                 // 00000000BFB4: D10000F9 00AA572E
	v_cndmask_b32_e64 v251, v46, v44, s[78:79]                 // 00000000BFBC: D10000FB 013A592E
	v_mov_b32_dpp v41, v73 row_shr:4 row_mask:0xf bank_mask:0xf// 00000000BFC4: 7E5202FA FF011449
	v_mov_b32_dpp v42, v73 row_shl:4 row_mask:0xf bank_mask:0xf// 00000000BFCC: 7E5402FA FF010449
	v_cndmask_b32_e64 v252, v73, v41, s[44:45]                 // 00000000BFD4: D10000FC 00B25349
	v_cndmask_b32_e64 v253, v42, v73, s[44:45]                 // 00000000BFDC: D10000FD 00B2932A
	v_mov_b32_dpp v41, v252 row_shr:8 row_mask:0xf bank_mask:0xf// 00000000BFE4: 7E5202FA FF0118FC
	v_mov_b32_dpp v42, v252 row_shl:8 row_mask:0xf bank_mask:0xf// 00000000BFEC: 7E5402FA FF0108FC
	v_mov_b32_dpp v43, v253 row_shr:8 row_mask:0xf bank_mask:0xf// 00000000BFF4: 7E5602FA FF0118FD
	v_mov_b32_dpp v44, v253 row_shl:8 row_mask:0xf bank_mask:0xf// 00000000BFFC: 7E5802FA FF0108FD
	v_mov_b32_e32 v45, v252                                    // 00000000C004: 7E5A03FC
	v_mov_b32_e32 v46, v253                                    // 00000000C008: 7E5C03FD
	v_cndmask_b32_e64 v252, v45, v41, s[42:43]                 // 00000000C00C: D10000FC 00AA532D
	v_cndmask_b32_e64 v254, v45, v42, s[78:79]                 // 00000000C014: D10000FE 013A552D
	v_cndmask_b32_e64 v253, v46, v43, s[42:43]                 // 00000000C01C: D10000FD 00AA572E
	v_cndmask_b32_e64 v255, v46, v44, s[78:79]                 // 00000000C024: D10000FF 013A592E
	buffer_load_dword v72, v70, s[36:39], 0 offen              // 00000000C02C: E0501000 80094846
	v_cvt_f32_i32_e32 v128, v128                               // 00000000C034: 7F000B80
	v_cvt_f32_i32_e32 v129, v129                               // 00000000C038: 7F020B81
	v_cvt_f32_i32_e32 v130, v130                               // 00000000C03C: 7F040B82
	v_cvt_f32_i32_e32 v131, v131                               // 00000000C040: 7F060B83
	v_cvt_f32_i32_e32 v132, v132                               // 00000000C044: 7F080B84
	v_cvt_f32_i32_e32 v133, v133                               // 00000000C048: 7F0A0B85
	v_cvt_f32_i32_e32 v134, v134                               // 00000000C04C: 7F0C0B86
	v_cvt_f32_i32_e32 v135, v135                               // 00000000C050: 7F0E0B87
	v_cvt_f32_i32_e32 v136, v136                               // 00000000C054: 7F100B88
	v_cvt_f32_i32_e32 v137, v137                               // 00000000C058: 7F120B89
	v_cvt_f32_i32_e32 v138, v138                               // 00000000C05C: 7F140B8A
	v_cvt_f32_i32_e32 v139, v139                               // 00000000C060: 7F160B8B
	v_cvt_f32_i32_e32 v140, v140                               // 00000000C064: 7F180B8C
	v_cvt_f32_i32_e32 v141, v141                               // 00000000C068: 7F1A0B8D
	v_cvt_f32_i32_e32 v142, v142                               // 00000000C06C: 7F1C0B8E
	v_cvt_f32_i32_e32 v143, v143                               // 00000000C070: 7F1E0B8F
	v_mul_f32_e32 v128, v54, v128                              // 00000000C074: 0B010136
	v_mul_f32_e32 v129, v54, v129                              // 00000000C078: 0B030336
	v_mul_f32_e32 v130, v54, v130                              // 00000000C07C: 0B050536
	v_mul_f32_e32 v131, v54, v131                              // 00000000C080: 0B070736
	v_mul_f32_e32 v132, v54, v132                              // 00000000C084: 0B090936
	v_mul_f32_e32 v133, v54, v133                              // 00000000C088: 0B0B0B36
	v_mul_f32_e32 v134, v54, v134                              // 00000000C08C: 0B0D0D36
	v_mul_f32_e32 v135, v54, v135                              // 00000000C090: 0B0F0F36
	v_mul_f32_e32 v136, v54, v136                              // 00000000C094: 0B111136
	v_mul_f32_e32 v137, v54, v137                              // 00000000C098: 0B131336
	v_mul_f32_e32 v138, v54, v138                              // 00000000C09C: 0B151536
	v_mul_f32_e32 v139, v54, v139                              // 00000000C0A0: 0B171736
	v_mul_f32_e32 v140, v54, v140                              // 00000000C0A4: 0B191936
	v_mul_f32_e32 v141, v54, v141                              // 00000000C0A8: 0B1B1B36
	v_mul_f32_e32 v142, v54, v142                              // 00000000C0AC: 0B1D1D36
	v_mul_f32_e32 v143, v54, v143                              // 00000000C0B0: 0B1F1F36
	buffer_load_dwordx4 a[16:19], v27, s[16:19], 0 offen       // 00000000C0B4: E05C1000 8084101B
	v_mul_f32_dpp v128, v248, v128 quad_perm:[0,0,0,0] row_mask:0xf bank_mask:0xf// 00000000C0BC: 0B0100FA FF0000F8
	v_mul_f32_dpp v129, v248, v129 quad_perm:[1,1,1,1] row_mask:0xf bank_mask:0xf// 00000000C0C4: 0B0302FA FF0055F8
	v_mul_f32_dpp v130, v248, v130 quad_perm:[2,2,2,2] row_mask:0xf bank_mask:0xf// 00000000C0CC: 0B0504FA FF00AAF8
	v_mul_f32_dpp v131, v248, v131 quad_perm:[3,3,3,3] row_mask:0xf bank_mask:0xf// 00000000C0D4: 0B0706FA FF00FFF8
	v_mul_f32_dpp v132, v249, v132 quad_perm:[0,0,0,0] row_mask:0xf bank_mask:0xf// 00000000C0DC: 0B0908FA FF0000F9
	v_mul_f32_dpp v133, v249, v133 quad_perm:[1,1,1,1] row_mask:0xf bank_mask:0xf// 00000000C0E4: 0B0B0AFA FF0055F9
	v_mul_f32_dpp v134, v249, v134 quad_perm:[2,2,2,2] row_mask:0xf bank_mask:0xf// 00000000C0EC: 0B0D0CFA FF00AAF9
	v_mul_f32_dpp v135, v249, v135 quad_perm:[3,3,3,3] row_mask:0xf bank_mask:0xf// 00000000C0F4: 0B0F0EFA FF00FFF9
	v_mul_f32_dpp v136, v250, v136 quad_perm:[0,0,0,0] row_mask:0xf bank_mask:0xf// 00000000C0FC: 0B1110FA FF0000FA
	v_mul_f32_dpp v137, v250, v137 quad_perm:[1,1,1,1] row_mask:0xf bank_mask:0xf// 00000000C104: 0B1312FA FF0055FA
	v_mul_f32_dpp v138, v250, v138 quad_perm:[2,2,2,2] row_mask:0xf bank_mask:0xf// 00000000C10C: 0B1514FA FF00AAFA
	v_mul_f32_dpp v139, v250, v139 quad_perm:[3,3,3,3] row_mask:0xf bank_mask:0xf// 00000000C114: 0B1716FA FF00FFFA
	v_mul_f32_dpp v140, v251, v140 quad_perm:[0,0,0,0] row_mask:0xf bank_mask:0xf// 00000000C11C: 0B1918FA FF0000FB
	v_mul_f32_dpp v141, v251, v141 quad_perm:[1,1,1,1] row_mask:0xf bank_mask:0xf// 00000000C124: 0B1B1AFA FF0055FB
	v_mul_f32_dpp v142, v251, v142 quad_perm:[2,2,2,2] row_mask:0xf bank_mask:0xf// 00000000C12C: 0B1D1CFA FF00AAFB
	v_mul_f32_dpp v143, v251, v143 quad_perm:[3,3,3,3] row_mask:0xf bank_mask:0xf// 00000000C134: 0B1F1EFA FF00FFFB
	buffer_load_dwordx4 a[20:23], v27, s[16:19], 0 offen offset:1024// 00000000C13C: E05C1400 8084141B
	v_mov_b32_e32 v62, v128                                    // 00000000C144: 7E7C0380
	v_max3_f32 v62, v128, v129, v62                            // 00000000C148: D1D3003E 04FB0380
	v_max3_f32 v62, v130, v131, v62                            // 00000000C150: D1D3003E 04FB0782
	v_max3_f32 v62, v132, v133, v62                            // 00000000C158: D1D3003E 04FB0B84
	v_max3_f32 v62, v134, v135, v62                            // 00000000C160: D1D3003E 04FB0F86
	v_max3_f32 v62, v136, v137, v62                            // 00000000C168: D1D3003E 04FB1388
	v_max3_f32 v62, v138, v139, v62                            // 00000000C170: D1D3003E 04FB178A
	v_max3_f32 v62, v140, v141, v62                            // 00000000C178: D1D3003E 04FB1B8C
	v_max3_f32 v62, v142, v143, v62                            // 00000000C180: D1D3003E 04FB1F8E
	ds_write_b32 v11, v62 offset:16896                         // 00000000C188: D81A4200 00003E0B
	buffer_load_dwordx4 a[24:27], v28, s[16:19], 0 offen       // 00000000C190: E05C1000 8084181C
	v_mul_u32_u24_dpp v41, v19, v68 row_newbcast:1 row_mask:0xf bank_mask:0xf// 00000000C198: 105288FA FF015113
	v_mul_u32_u24_dpp v42, v19, v68 row_newbcast:5 row_mask:0xf bank_mask:0xf// 00000000C1A0: 105488FA FF015513
	v_mul_u32_u24_dpp v43, v19, v68 row_newbcast:9 row_mask:0xf bank_mask:0xf// 00000000C1A8: 105688FA FF015913
	v_mul_u32_u24_dpp v44, v19, v68 row_newbcast:13 row_mask:0xf bank_mask:0xf// 00000000C1B0: 105888FA FF015D13
	v_add_u32_e32 v33, v41, v7                                 // 00000000C1B8: 68420F29
	v_add_u32_e32 v34, v42, v7                                 // 00000000C1BC: 68440F2A
	v_add_u32_e32 v35, v43, v7                                 // 00000000C1C0: 68460F2B
	v_add_u32_e32 v36, v44, v7                                 // 00000000C1C4: 68480F2C
	v_mul_f32_e32 v224, v63, v224                              // 00000000C1C8: 0BC1C13F
	v_mul_f32_e32 v225, v63, v225                              // 00000000C1CC: 0BC3C33F
	v_mul_f32_e32 v226, v63, v226                              // 00000000C1D0: 0BC5C53F
	v_mul_f32_e32 v227, v63, v227                              // 00000000C1D4: 0BC7C73F
	v_mul_f32_e32 v228, v63, v228                              // 00000000C1D8: 0BC9C93F
	v_mul_f32_e32 v229, v63, v229                              // 00000000C1DC: 0BCBCB3F
	v_mul_f32_e32 v230, v63, v230                              // 00000000C1E0: 0BCDCD3F
	v_mul_f32_e32 v231, v63, v231                              // 00000000C1E4: 0BCFCF3F
	s_waitcnt lgkmcnt(0)                                       // 00000000C1E8: BF8CC07F
	s_barrier                                                  // 00000000C1EC: BF8A0000
	ds_read_b32 v80, v10 offset:16896                          // 00000000C1F0: D86C4200 5000000A
	ds_read_b32 v81, v10 offset:16960                          // 00000000C1F8: D86C4240 5100000A
	ds_read_b32 v82, v10 offset:17024                          // 00000000C200: D86C4280 5200000A
	ds_read_b32 v83, v10 offset:17088                          // 00000000C208: D86C42C0 5300000A
	ds_read_b32 v84, v10 offset:17152                          // 00000000C210: D86C4300 5400000A
	ds_read_b32 v85, v10 offset:17216                          // 00000000C218: D86C4340 5500000A
	ds_read_b32 v86, v10 offset:17280                          // 00000000C220: D86C4380 5600000A
	ds_read_b32 v87, v10 offset:17344                          // 00000000C228: D86C43C0 5700000A
	ds_read_b32 v88, v10 offset:17408                          // 00000000C230: D86C4400 5800000A
	ds_read_b32 v89, v10 offset:17472                          // 00000000C238: D86C4440 5900000A
	ds_read_b32 v90, v10 offset:17536                          // 00000000C240: D86C4480 5A00000A
	ds_read_b32 v91, v10 offset:17600                          // 00000000C248: D86C44C0 5B00000A
	ds_read_b32 v92, v10 offset:17664                          // 00000000C250: D86C4500 5C00000A
	ds_read_b32 v93, v10 offset:17728                          // 00000000C258: D86C4540 5D00000A
	ds_read_b32 v94, v10 offset:17792                          // 00000000C260: D86C4580 5E00000A
	ds_read_b32 v95, v10 offset:17856                          // 00000000C268: D86C45C0 5F00000A
	buffer_load_dwordx4 a[28:31], v28, s[16:19], 0 offen offset:1024// 00000000C270: E05C1400 80841C1C
	v_cvt_f32_i32_e32 v192, v192                               // 00000000C278: 7F800BC0
	v_cvt_f32_i32_e32 v193, v193                               // 00000000C27C: 7F820BC1
	v_cvt_f32_i32_e32 v194, v194                               // 00000000C280: 7F840BC2
	v_cvt_f32_i32_e32 v195, v195                               // 00000000C284: 7F860BC3
	v_cvt_f32_i32_e32 v196, v196                               // 00000000C288: 7F880BC4
	v_cvt_f32_i32_e32 v197, v197                               // 00000000C28C: 7F8A0BC5
	v_cvt_f32_i32_e32 v198, v198                               // 00000000C290: 7F8C0BC6
	v_cvt_f32_i32_e32 v199, v199                               // 00000000C294: 7F8E0BC7
	v_mul_f32_e32 v192, v58, v192                              // 00000000C298: 0B81813A
	v_mul_f32_e32 v193, v58, v193                              // 00000000C29C: 0B83833A
	v_mul_f32_e32 v194, v58, v194                              // 00000000C2A0: 0B85853A
	v_mul_f32_e32 v195, v58, v195                              // 00000000C2A4: 0B87873A
	v_mul_f32_e32 v196, v58, v196                              // 00000000C2A8: 0B89893A
	v_mul_f32_e32 v197, v58, v197                              // 00000000C2AC: 0B8B8B3A
	v_mul_f32_e32 v198, v58, v198                              // 00000000C2B0: 0B8D8D3A
	v_mul_f32_e32 v199, v58, v199                              // 00000000C2B4: 0B8F8F3A
	s_waitcnt lgkmcnt(0)                                       // 00000000C2B8: BF8CC07F
	v_max3_f32 v62, v80, v81, v62                              // 00000000C2BC: D1D3003E 04FAA350
	v_max3_f32 v62, v82, v83, v62                              // 00000000C2C4: D1D3003E 04FAA752
	v_max3_f32 v62, v84, v85, v62                              // 00000000C2CC: D1D3003E 04FAAB54
	v_max3_f32 v62, v86, v87, v62                              // 00000000C2D4: D1D3003E 04FAAF56
	v_max3_f32 v62, v88, v89, v62                              // 00000000C2DC: D1D3003E 04FAB358
	v_max3_f32 v62, v90, v91, v62                              // 00000000C2E4: D1D3003E 04FAB75A
	v_max3_f32 v62, v92, v93, v62                              // 00000000C2EC: D1D3003E 04FABB5C
	v_max3_f32 v62, v94, v95, v62                              // 00000000C2F4: D1D3003E 04FABF5E
	buffer_load_dwordx4 a[64:67], v33, s[20:23], 0 offen       // 00000000C2FC: E05C1000 80854021
	v_mov_b32_e32 v41, 0xff800000                              // 00000000C304: 7E5202FF FF800000
	v_cmp_eq_u32_e64 s[40:41], v41, v14                        // 00000000C30C: D0CA0028 00021D29
	s_nop 1                                                    // 00000000C314: BF800001
	v_max_f32_e32 v18, v62, v14                                // 00000000C318: 16241D3E
	v_mul_f32_e32 v67, s64, v18                                // 00000000C31C: 0A862440
	v_fma_f32 v128, v128, s64, -v67                            // 00000000C320: D1CB0080 850C8180
	v_fma_f32 v129, v129, s64, -v67                            // 00000000C328: D1CB0081 850C8181
	v_fma_f32 v130, v130, s64, -v67                            // 00000000C330: D1CB0082 850C8182
	v_fma_f32 v131, v131, s64, -v67                            // 00000000C338: D1CB0083 850C8183
	v_fma_f32 v132, v132, s64, -v67                            // 00000000C340: D1CB0084 850C8184
	v_fma_f32 v133, v133, s64, -v67                            // 00000000C348: D1CB0085 850C8185
	v_fma_f32 v134, v134, s64, -v67                            // 00000000C350: D1CB0086 850C8186
	v_fma_f32 v135, v135, s64, -v67                            // 00000000C358: D1CB0087 850C8187
	v_fma_f32 v136, v136, s64, -v67                            // 00000000C360: D1CB0088 850C8188
	v_fma_f32 v137, v137, s64, -v67                            // 00000000C368: D1CB0089 850C8189
	v_fma_f32 v138, v138, s64, -v67                            // 00000000C370: D1CB008A 850C818A
	v_fma_f32 v139, v139, s64, -v67                            // 00000000C378: D1CB008B 850C818B
	v_fma_f32 v140, v140, s64, -v67                            // 00000000C380: D1CB008C 850C818C
	v_fma_f32 v141, v141, s64, -v67                            // 00000000C388: D1CB008D 850C818D
	v_fma_f32 v142, v142, s64, -v67                            // 00000000C390: D1CB008E 850C818E
	v_fma_f32 v143, v143, s64, -v67                            // 00000000C398: D1CB008F 850C818F
	buffer_load_dwordx4 a[68:71], v34, s[20:23], 0 offen       // 00000000C3A0: E05C1000 80854422
	v_exp_f32_e32 v128, v128                                   // 00000000C3A8: 7F004180
	v_exp_f32_e32 v129, v129                                   // 00000000C3AC: 7F024181
	v_exp_f32_e32 v130, v130                                   // 00000000C3B0: 7F044182
	v_exp_f32_e32 v131, v131                                   // 00000000C3B4: 7F064183
	v_exp_f32_e32 v132, v132                                   // 00000000C3B8: 7F084184
	v_exp_f32_e32 v133, v133                                   // 00000000C3BC: 7F0A4185
	v_exp_f32_e32 v134, v134                                   // 00000000C3C0: 7F0C4186
	v_exp_f32_e32 v135, v135                                   // 00000000C3C4: 7F0E4187
	v_exp_f32_e32 v136, v136                                   // 00000000C3C8: 7F104188
	v_exp_f32_e32 v137, v137                                   // 00000000C3CC: 7F124189
	v_exp_f32_e32 v138, v138                                   // 00000000C3D0: 7F14418A
	v_exp_f32_e32 v139, v139                                   // 00000000C3D4: 7F16418B
	v_exp_f32_e32 v140, v140                                   // 00000000C3D8: 7F18418C
	v_exp_f32_e32 v141, v141                                   // 00000000C3DC: 7F1A418D
	v_exp_f32_e32 v142, v142                                   // 00000000C3E0: 7F1C418E
	v_exp_f32_e32 v143, v143                                   // 00000000C3E4: 7F1E418F
	buffer_load_dwordx4 a[72:75], v35, s[20:23], 0 offen       // 00000000C3E8: E05C1000 80854823
	v_mul_f32_dpp v240, v252, v128 quad_perm:[0,0,0,0] row_mask:0xf bank_mask:0xf// 00000000C3F0: 0BE100FA FF0000FC
	v_mul_f32_dpp v241, v252, v129 quad_perm:[1,1,1,1] row_mask:0xf bank_mask:0xf// 00000000C3F8: 0BE302FA FF0055FC
	v_mul_f32_dpp v242, v252, v130 quad_perm:[2,2,2,2] row_mask:0xf bank_mask:0xf// 00000000C400: 0BE504FA FF00AAFC
	v_mul_f32_dpp v243, v252, v131 quad_perm:[3,3,3,3] row_mask:0xf bank_mask:0xf// 00000000C408: 0BE706FA FF00FFFC
	v_mul_f32_dpp v244, v253, v132 quad_perm:[0,0,0,0] row_mask:0xf bank_mask:0xf// 00000000C410: 0BE908FA FF0000FD
	v_mul_f32_dpp v245, v253, v133 quad_perm:[1,1,1,1] row_mask:0xf bank_mask:0xf// 00000000C418: 0BEB0AFA FF0055FD
	v_mul_f32_dpp v246, v253, v134 quad_perm:[2,2,2,2] row_mask:0xf bank_mask:0xf// 00000000C420: 0BED0CFA FF00AAFD
	v_mul_f32_dpp v247, v253, v135 quad_perm:[3,3,3,3] row_mask:0xf bank_mask:0xf// 00000000C428: 0BEF0EFA FF00FFFD
	v_mul_f32_dpp v248, v254, v136 quad_perm:[0,0,0,0] row_mask:0xf bank_mask:0xf// 00000000C430: 0BF110FA FF0000FE
	v_mul_f32_dpp v249, v254, v137 quad_perm:[1,1,1,1] row_mask:0xf bank_mask:0xf// 00000000C438: 0BF312FA FF0055FE
	v_mul_f32_dpp v250, v254, v138 quad_perm:[2,2,2,2] row_mask:0xf bank_mask:0xf// 00000000C440: 0BF514FA FF00AAFE
	v_mul_f32_dpp v251, v254, v139 quad_perm:[3,3,3,3] row_mask:0xf bank_mask:0xf// 00000000C448: 0BF716FA FF00FFFE
	v_mul_f32_dpp v252, v255, v140 quad_perm:[0,0,0,0] row_mask:0xf bank_mask:0xf// 00000000C450: 0BF918FA FF0000FF
	v_mul_f32_dpp v253, v255, v141 quad_perm:[1,1,1,1] row_mask:0xf bank_mask:0xf// 00000000C458: 0BFB1AFA FF0055FF
	v_mul_f32_dpp v254, v255, v142 quad_perm:[2,2,2,2] row_mask:0xf bank_mask:0xf// 00000000C460: 0BFD1CFA FF00AAFF
	v_mul_f32_dpp v255, v255, v143 quad_perm:[3,3,3,3] row_mask:0xf bank_mask:0xf// 00000000C468: 0BFF1EFA FF00FFFF
	v_mov_b32_e32 v62, 0x358637bd                              // 00000000C470: 7E7C02FF 358637BD
	v_max3_f32 v62, |v240|, |v241|, v62                        // 00000000C478: D1D3033E 04FBE3F0
	v_max3_f32 v62, |v242|, |v243|, v62                        // 00000000C480: D1D3033E 04FBE7F2
	v_max3_f32 v62, |v244|, |v245|, v62                        // 00000000C488: D1D3033E 04FBEBF4
	v_max3_f32 v62, |v246|, |v247|, v62                        // 00000000C490: D1D3033E 04FBEFF6
	v_max3_f32 v62, |v248|, |v249|, v62                        // 00000000C498: D1D3033E 04FBF3F8
	v_max3_f32 v62, |v250|, |v251|, v62                        // 00000000C4A0: D1D3033E 04FBF7FA
	v_max3_f32 v62, |v252|, |v253|, v62                        // 00000000C4A8: D1D3033E 04FBFBFC
	v_max3_f32 v62, |v254|, |v255|, v62                        // 00000000C4B0: D1D3033E 04FBFFFE
	buffer_load_dwordx4 a[76:79], v36, s[20:23], 0 offen       // 00000000C4B8: E05C1000 80854C24
	ds_write_b32 v11, v62 offset:20992                         // 00000000C4C0: D81A5200 00003E0B
	v_sub_f32_e32 v63, v14, v18                                // 00000000C4C8: 047E250E
	v_cndmask_b32_e64 v63, v63, 0, s[40:41]                    // 00000000C4CC: D100003F 00A1013F
	v_mov_b32_e32 v14, v18                                     // 00000000C4D4: 7E1C0312
	v_mul_f32_e32 v63, s64, v63                                // 00000000C4D8: 0A7E7E40
	v_exp_f32_e32 v63, v63                                     // 00000000C4DC: 7E7E413F
	s_waitcnt lgkmcnt(0)                                       // 00000000C4E0: BF8CC07F
	s_barrier                                                  // 00000000C4E4: BF8A0000
	ds_read_b32 v80, v10 offset:20992                          // 00000000C4E8: D86C5200 5000000A
	ds_read_b32 v81, v10 offset:21056                          // 00000000C4F0: D86C5240 5100000A
	ds_read_b32 v82, v10 offset:21120                          // 00000000C4F8: D86C5280 5200000A
	ds_read_b32 v83, v10 offset:21184                          // 00000000C500: D86C52C0 5300000A
	ds_read_b32 v84, v10 offset:21248                          // 00000000C508: D86C5300 5400000A
	ds_read_b32 v85, v10 offset:21312                          // 00000000C510: D86C5340 5500000A
	ds_read_b32 v86, v10 offset:21376                          // 00000000C518: D86C5380 5600000A
	ds_read_b32 v87, v10 offset:21440                          // 00000000C520: D86C53C0 5700000A
	ds_read_b32 v88, v10 offset:21504                          // 00000000C528: D86C5400 5800000A
	ds_read_b32 v89, v10 offset:21568                          // 00000000C530: D86C5440 5900000A
	ds_read_b32 v90, v10 offset:21632                          // 00000000C538: D86C5480 5A00000A
	ds_read_b32 v91, v10 offset:21696                          // 00000000C540: D86C54C0 5B00000A
	ds_read_b32 v92, v10 offset:21760                          // 00000000C548: D86C5500 5C00000A
	ds_read_b32 v93, v10 offset:21824                          // 00000000C550: D86C5540 5D00000A
	ds_read_b32 v94, v10 offset:21888                          // 00000000C558: D86C5580 5E00000A
	ds_read_b32 v95, v10 offset:21952                          // 00000000C560: D86C55C0 5F00000A
	v_mul_f32_e32 v47, v63, v47                                // 00000000C568: 0A5E5F3F
	v_mov_b32_e32 v18, v128                                    // 00000000C56C: 7E240380
	v_add_f32_e32 v18, v129, v18                               // 00000000C570: 02242581
	v_add_f32_e32 v18, v130, v18                               // 00000000C574: 02242582
	v_add_f32_e32 v18, v131, v18                               // 00000000C578: 02242583
	v_add_f32_e32 v18, v132, v18                               // 00000000C57C: 02242584
	v_add_f32_e32 v18, v133, v18                               // 00000000C580: 02242585
	v_add_f32_e32 v18, v134, v18                               // 00000000C584: 02242586
	v_add_f32_e32 v18, v135, v18                               // 00000000C588: 02242587
	v_add_f32_e32 v18, v136, v18                               // 00000000C58C: 02242588
	v_add_f32_e32 v18, v137, v18                               // 00000000C590: 02242589
	v_add_f32_e32 v18, v138, v18                               // 00000000C594: 0224258A
	v_add_f32_e32 v18, v139, v18                               // 00000000C598: 0224258B
	v_add_f32_e32 v18, v140, v18                               // 00000000C59C: 0224258C
	v_add_f32_e32 v18, v141, v18                               // 00000000C5A0: 0224258D
	v_add_f32_e32 v18, v142, v18                               // 00000000C5A4: 0224258E
	v_add_f32_e32 v18, v143, v18                               // 00000000C5A8: 0224258F
	v_add_f32_e32 v47, v18, v47                                // 00000000C5AC: 025E5F12
	s_waitcnt lgkmcnt(0)                                       // 00000000C5B0: BF8CC07F
	v_max3_f32 v62, |v80|, |v81|, v62                          // 00000000C5B4: D1D3033E 04FAA350
	v_max3_f32 v62, |v82|, |v83|, v62                          // 00000000C5BC: D1D3033E 04FAA752
	v_max3_f32 v62, |v84|, |v85|, v62                          // 00000000C5C4: D1D3033E 04FAAB54
	v_max3_f32 v62, |v86|, |v87|, v62                          // 00000000C5CC: D1D3033E 04FAAF56
	v_max3_f32 v62, |v88|, |v89|, v62                          // 00000000C5D4: D1D3033E 04FAB358
	v_max3_f32 v62, |v90|, |v91|, v62                          // 00000000C5DC: D1D3033E 04FAB75A
	v_max3_f32 v62, |v92|, |v93|, v62                          // 00000000C5E4: D1D3033E 04FABB5C
	v_max3_f32 v62, |v94|, |v95|, v62                          // 00000000C5EC: D1D3033E 04FABF5E
	s_nop 2                                                    // 00000000C5F4: BF800002
	v_rcp_f32_e32 v62, v62                                     // 00000000C5F8: 7E7C453E
	s_nop 1                                                    // 00000000C5FC: BF800001
	v_mul_f32_e32 v62, 0x42fe0000, v62                         // 00000000C600: 0A7C7CFF 42FE0000
	v_mul_f32_e32 v128, v62, v240                              // 00000000C608: 0B01E13E
	v_mul_f32_e32 v129, v62, v241                              // 00000000C60C: 0B03E33E
	v_mul_f32_e32 v130, v62, v242                              // 00000000C610: 0B05E53E
	v_mul_f32_e32 v131, v62, v243                              // 00000000C614: 0B07E73E
	v_mul_f32_e32 v132, v62, v244                              // 00000000C618: 0B09E93E
	v_mul_f32_e32 v133, v62, v245                              // 00000000C61C: 0B0BEB3E
	v_mul_f32_e32 v134, v62, v246                              // 00000000C620: 0B0DED3E
	v_mul_f32_e32 v135, v62, v247                              // 00000000C624: 0B0FEF3E
	v_mul_f32_e32 v136, v62, v248                              // 00000000C628: 0B11F13E
	v_mul_f32_e32 v137, v62, v249                              // 00000000C62C: 0B13F33E
	v_mul_f32_e32 v138, v62, v250                              // 00000000C630: 0B15F53E
	v_mul_f32_e32 v139, v62, v251                              // 00000000C634: 0B17F73E
	v_mul_f32_e32 v140, v62, v252                              // 00000000C638: 0B19F93E
	v_mul_f32_e32 v141, v62, v253                              // 00000000C63C: 0B1BFB3E
	v_mul_f32_e32 v142, v62, v254                              // 00000000C640: 0B1DFD3E
	v_mul_f32_e32 v143, v62, v255                              // 00000000C644: 0B1FFF3E
	v_cvt_i32_f32_e32 v128, v128                               // 00000000C648: 7F001180
	v_cvt_i32_f32_e32 v129, v129                               // 00000000C64C: 7F021181
	v_cvt_i32_f32_e32 v130, v130                               // 00000000C650: 7F041182
	v_cvt_i32_f32_e32 v131, v131                               // 00000000C654: 7F061183
	v_cvt_i32_f32_e32 v132, v132                               // 00000000C658: 7F081184
	v_cvt_i32_f32_e32 v133, v133                               // 00000000C65C: 7F0A1185
	v_cvt_i32_f32_e32 v134, v134                               // 00000000C660: 7F0C1186
	v_cvt_i32_f32_e32 v135, v135                               // 00000000C664: 7F0E1187
	v_cvt_i32_f32_e32 v136, v136                               // 00000000C668: 7F101188
	v_cvt_i32_f32_e32 v137, v137                               // 00000000C66C: 7F121189
	v_cvt_i32_f32_e32 v138, v138                               // 00000000C670: 7F14118A
	v_cvt_i32_f32_e32 v139, v139                               // 00000000C674: 7F16118B
	v_cvt_i32_f32_e32 v140, v140                               // 00000000C678: 7F18118C
	v_cvt_i32_f32_e32 v141, v141                               // 00000000C67C: 7F1A118D
	v_cvt_i32_f32_e32 v142, v142                               // 00000000C680: 7F1C118E
	v_cvt_i32_f32_e32 v143, v143                               // 00000000C684: 7F1E118F
	v_perm_b32 v128, v129, v128, s53                           // 00000000C688: D1ED0080 00D70181
	v_perm_b32 v128, v130, v128, s54                           // 00000000C690: D1ED0080 00DB0182
	v_perm_b32 v128, v131, v128, s55                           // 00000000C698: D1ED0080 00DF0183
	v_perm_b32 v129, v133, v132, s53                           // 00000000C6A0: D1ED0081 00D70985
	v_perm_b32 v129, v134, v129, s54                           // 00000000C6A8: D1ED0081 00DB0386
	v_perm_b32 v129, v135, v129, s55                           // 00000000C6B0: D1ED0081 00DF0387
	v_perm_b32 v130, v137, v136, s53                           // 00000000C6B8: D1ED0082 00D71189
	v_perm_b32 v130, v138, v130, s54                           // 00000000C6C0: D1ED0082 00DB058A
	v_perm_b32 v130, v139, v130, s55                           // 00000000C6C8: D1ED0082 00DF058B
	v_perm_b32 v131, v141, v140, s53                           // 00000000C6D0: D1ED0083 00D7198D
	v_perm_b32 v131, v142, v131, s54                           // 00000000C6D8: D1ED0083 00DB078E
	v_perm_b32 v131, v143, v131, s55                           // 00000000C6E0: D1ED0083 00DF078F
	ds_write_b32 v13, v128 offset:25088                        // 00000000C6E8: D81A6200 0000800D
	ds_write_b32 v13, v129 offset:26112                        // 00000000C6F0: D81A6600 0000810D
	ds_write_b32 v13, v130 offset:27136                        // 00000000C6F8: D81A6A00 0000820D
	ds_write_b32 v13, v131 offset:28160                        // 00000000C700: D81A6E00 0000830D
	v_add_f32_e32 v224, v224, v192                             // 00000000C708: 03C181E0
	v_add_f32_e32 v225, v225, v193                             // 00000000C70C: 03C383E1
	v_add_f32_e32 v226, v226, v194                             // 00000000C710: 03C585E2
	v_add_f32_e32 v227, v227, v195                             // 00000000C714: 03C787E3
	v_add_f32_e32 v228, v228, v196                             // 00000000C718: 03C989E4
	v_add_f32_e32 v229, v229, v197                             // 00000000C71C: 03CB8BE5
	v_add_f32_e32 v230, v230, v198                             // 00000000C720: 03CD8DE6
	v_add_f32_e32 v231, v231, v199                             // 00000000C724: 03CF8FE7
	v_rcp_f32_e32 v58, v62                                     // 00000000C728: 7E74453E
	s_waitcnt lgkmcnt(0)                                       // 00000000C72C: BF8CC07F
	s_barrier                                                  // 00000000C730: BF8A0000
	ds_read_b64 v[128:129], v12 offset:25088                   // 00000000C734: D8EC6200 8000000C
	ds_read_b64 v[130:131], v12 offset:25216                   // 00000000C73C: D8EC6280 8200000C
	ds_read_b64 v[132:133], v12 offset:26112                   // 00000000C744: D8EC6600 8400000C
	ds_read_b64 v[134:135], v12 offset:26240                   // 00000000C74C: D8EC6680 8600000C
	ds_read_b64 v[136:137], v12 offset:27136                   // 00000000C754: D8EC6A00 8800000C
	ds_read_b64 v[138:139], v12 offset:27264                   // 00000000C75C: D8EC6A80 8A00000C
	ds_read_b64 v[140:141], v12 offset:28160                   // 00000000C764: D8EC6E00 8C00000C
	ds_read_b64 v[142:143], v12 offset:28288                   // 00000000C76C: D8EC6E80 8E00000C
	v_mov_b32_dpp v41, v53 row_shr:4 row_mask:0xf bank_mask:0xf// 00000000C774: 7E5202FA FF011435
	v_mov_b32_dpp v42, v53 row_shl:4 row_mask:0xf bank_mask:0xf// 00000000C77C: 7E5402FA FF010435
	v_cndmask_b32_e64 v248, v53, v41, s[44:45]                 // 00000000C784: D10000F8 00B25335
	v_cndmask_b32_e64 v249, v42, v53, s[44:45]                 // 00000000C78C: D10000F9 00B26B2A
	v_mov_b32_dpp v41, v248 row_shr:8 row_mask:0xf bank_mask:0xf// 00000000C794: 7E5202FA FF0118F8
	v_mov_b32_dpp v42, v248 row_shl:8 row_mask:0xf bank_mask:0xf// 00000000C79C: 7E5402FA FF0108F8
	v_mov_b32_dpp v43, v249 row_shr:8 row_mask:0xf bank_mask:0xf// 00000000C7A4: 7E5602FA FF0118F9
	v_mov_b32_dpp v44, v249 row_shl:8 row_mask:0xf bank_mask:0xf// 00000000C7AC: 7E5802FA FF0108F9
	v_mov_b32_e32 v45, v248                                    // 00000000C7B4: 7E5A03F8
	v_mov_b32_e32 v46, v249                                    // 00000000C7B8: 7E5C03F9
	v_cndmask_b32_e64 v248, v45, v41, s[42:43]                 // 00000000C7BC: D10000F8 00AA532D
	v_cndmask_b32_e64 v250, v45, v42, s[78:79]                 // 00000000C7C4: D10000FA 013A552D
	v_cndmask_b32_e64 v249, v46, v43, s[42:43]                 // 00000000C7CC: D10000F9 00AA572E
	v_cndmask_b32_e64 v251, v46, v44, s[78:79]                 // 00000000C7D4: D10000FB 013A592E
	v_mov_b32_dpp v41, v73 row_shr:4 row_mask:0xf bank_mask:0xf// 00000000C7DC: 7E5202FA FF011449
	v_mov_b32_dpp v42, v73 row_shl:4 row_mask:0xf bank_mask:0xf// 00000000C7E4: 7E5402FA FF010449
	v_cndmask_b32_e64 v252, v73, v41, s[44:45]                 // 00000000C7EC: D10000FC 00B25349
	v_cndmask_b32_e64 v253, v42, v73, s[44:45]                 // 00000000C7F4: D10000FD 00B2932A
	v_mov_b32_dpp v41, v252 row_shr:8 row_mask:0xf bank_mask:0xf// 00000000C7FC: 7E5202FA FF0118FC
	v_mov_b32_dpp v42, v252 row_shl:8 row_mask:0xf bank_mask:0xf// 00000000C804: 7E5402FA FF0108FC
	v_mov_b32_dpp v43, v253 row_shr:8 row_mask:0xf bank_mask:0xf// 00000000C80C: 7E5602FA FF0118FD
	v_mov_b32_dpp v44, v253 row_shl:8 row_mask:0xf bank_mask:0xf// 00000000C814: 7E5802FA FF0108FD
	v_mov_b32_e32 v45, v252                                    // 00000000C81C: 7E5A03FC
	v_mov_b32_e32 v46, v253                                    // 00000000C820: 7E5C03FD
	v_cndmask_b32_e64 v252, v45, v41, s[42:43]                 // 00000000C824: D10000FC 00AA532D
	v_cndmask_b32_e64 v254, v45, v42, s[78:79]                 // 00000000C82C: D10000FE 013A552D
	v_cndmask_b32_e64 v253, v46, v43, s[42:43]                 // 00000000C834: D10000FD 00AA572E
	v_cndmask_b32_e64 v255, v46, v44, s[78:79]                 // 00000000C83C: D10000FF 013A592E
	v_cvt_f32_i32_e32 v144, v144                               // 00000000C844: 7F200B90
	v_cvt_f32_i32_e32 v145, v145                               // 00000000C848: 7F220B91
	v_cvt_f32_i32_e32 v146, v146                               // 00000000C84C: 7F240B92
	v_cvt_f32_i32_e32 v147, v147                               // 00000000C850: 7F260B93
	v_cvt_f32_i32_e32 v148, v148                               // 00000000C854: 7F280B94
	v_cvt_f32_i32_e32 v149, v149                               // 00000000C858: 7F2A0B95
	v_cvt_f32_i32_e32 v150, v150                               // 00000000C85C: 7F2C0B96
	v_cvt_f32_i32_e32 v151, v151                               // 00000000C860: 7F2E0B97
	v_cvt_f32_i32_e32 v152, v152                               // 00000000C864: 7F300B98
	v_cvt_f32_i32_e32 v153, v153                               // 00000000C868: 7F320B99
	v_cvt_f32_i32_e32 v154, v154                               // 00000000C86C: 7F340B9A
	v_cvt_f32_i32_e32 v155, v155                               // 00000000C870: 7F360B9B
	v_cvt_f32_i32_e32 v156, v156                               // 00000000C874: 7F380B9C
	v_cvt_f32_i32_e32 v157, v157                               // 00000000C878: 7F3A0B9D
	v_cvt_f32_i32_e32 v158, v158                               // 00000000C87C: 7F3C0B9E
	v_cvt_f32_i32_e32 v159, v159                               // 00000000C880: 7F3E0B9F
	v_mul_f32_e32 v144, v55, v144                              // 00000000C884: 0B212137
	v_mul_f32_e32 v145, v55, v145                              // 00000000C888: 0B232337
	v_mul_f32_e32 v146, v55, v146                              // 00000000C88C: 0B252537
	v_mul_f32_e32 v147, v55, v147                              // 00000000C890: 0B272737
	v_mul_f32_e32 v148, v55, v148                              // 00000000C894: 0B292937
	v_mul_f32_e32 v149, v55, v149                              // 00000000C898: 0B2B2B37
	v_mul_f32_e32 v150, v55, v150                              // 00000000C89C: 0B2D2D37
	v_mul_f32_e32 v151, v55, v151                              // 00000000C8A0: 0B2F2F37
	v_mul_f32_e32 v152, v55, v152                              // 00000000C8A4: 0B313137
	v_mul_f32_e32 v153, v55, v153                              // 00000000C8A8: 0B333337
	v_mul_f32_e32 v154, v55, v154                              // 00000000C8AC: 0B353537
	v_mul_f32_e32 v155, v55, v155                              // 00000000C8B0: 0B373737
	v_mul_f32_e32 v156, v55, v156                              // 00000000C8B4: 0B393937
	v_mul_f32_e32 v157, v55, v157                              // 00000000C8B8: 0B3B3B37
	v_mul_f32_e32 v158, v55, v158                              // 00000000C8BC: 0B3D3D37
	v_mul_f32_e32 v159, v55, v159                              // 00000000C8C0: 0B3F3F37
	v_mul_f32_dpp v144, v248, v144 quad_perm:[0,0,0,0] row_mask:0xf bank_mask:0xf// 00000000C8C4: 0B2120FA FF0000F8
	v_mul_f32_dpp v145, v248, v145 quad_perm:[1,1,1,1] row_mask:0xf bank_mask:0xf// 00000000C8CC: 0B2322FA FF0055F8
	v_mul_f32_dpp v146, v248, v146 quad_perm:[2,2,2,2] row_mask:0xf bank_mask:0xf// 00000000C8D4: 0B2524FA FF00AAF8
	v_mul_f32_dpp v147, v248, v147 quad_perm:[3,3,3,3] row_mask:0xf bank_mask:0xf// 00000000C8DC: 0B2726FA FF00FFF8
	v_mul_f32_dpp v148, v249, v148 quad_perm:[0,0,0,0] row_mask:0xf bank_mask:0xf// 00000000C8E4: 0B2928FA FF0000F9
	v_mul_f32_dpp v149, v249, v149 quad_perm:[1,1,1,1] row_mask:0xf bank_mask:0xf// 00000000C8EC: 0B2B2AFA FF0055F9
	v_mul_f32_dpp v150, v249, v150 quad_perm:[2,2,2,2] row_mask:0xf bank_mask:0xf// 00000000C8F4: 0B2D2CFA FF00AAF9
	v_mul_f32_dpp v151, v249, v151 quad_perm:[3,3,3,3] row_mask:0xf bank_mask:0xf// 00000000C8FC: 0B2F2EFA FF00FFF9
	v_mul_f32_dpp v152, v250, v152 quad_perm:[0,0,0,0] row_mask:0xf bank_mask:0xf// 00000000C904: 0B3130FA FF0000FA
	v_mul_f32_dpp v153, v250, v153 quad_perm:[1,1,1,1] row_mask:0xf bank_mask:0xf// 00000000C90C: 0B3332FA FF0055FA
	v_mul_f32_dpp v154, v250, v154 quad_perm:[2,2,2,2] row_mask:0xf bank_mask:0xf// 00000000C914: 0B3534FA FF00AAFA
	v_mul_f32_dpp v155, v250, v155 quad_perm:[3,3,3,3] row_mask:0xf bank_mask:0xf// 00000000C91C: 0B3736FA FF00FFFA
	v_mul_f32_dpp v156, v251, v156 quad_perm:[0,0,0,0] row_mask:0xf bank_mask:0xf// 00000000C924: 0B3938FA FF0000FB
	v_mul_f32_dpp v157, v251, v157 quad_perm:[1,1,1,1] row_mask:0xf bank_mask:0xf// 00000000C92C: 0B3B3AFA FF0055FB
	v_mul_f32_dpp v158, v251, v158 quad_perm:[2,2,2,2] row_mask:0xf bank_mask:0xf// 00000000C934: 0B3D3CFA FF00AAFB
	v_mul_f32_dpp v159, v251, v159 quad_perm:[3,3,3,3] row_mask:0xf bank_mask:0xf// 00000000C93C: 0B3F3EFA FF00FFFB
	v_mov_b32_e32 v62, v144                                    // 00000000C944: 7E7C0390
	v_max3_f32 v62, v144, v145, v62                            // 00000000C948: D1D3003E 04FB2390
	v_max3_f32 v62, v146, v147, v62                            // 00000000C950: D1D3003E 04FB2792
	v_max3_f32 v62, v148, v149, v62                            // 00000000C958: D1D3003E 04FB2B94
	v_max3_f32 v62, v150, v151, v62                            // 00000000C960: D1D3003E 04FB2F96
	v_max3_f32 v62, v152, v153, v62                            // 00000000C968: D1D3003E 04FB3398
	v_max3_f32 v62, v154, v155, v62                            // 00000000C970: D1D3003E 04FB379A
	v_max3_f32 v62, v156, v157, v62                            // 00000000C978: D1D3003E 04FB3B9C
	v_max3_f32 v62, v158, v159, v62                            // 00000000C980: D1D3003E 04FB3F9E
	ds_write_b32 v11, v62 offset:16896                         // 00000000C988: D81A4200 00003E0B
	v_mul_f32_e32 v232, v64, v232                              // 00000000C990: 0BD1D140
	v_mul_f32_e32 v233, v64, v233                              // 00000000C994: 0BD3D340
	v_mul_f32_e32 v234, v64, v234                              // 00000000C998: 0BD5D540
	v_mul_f32_e32 v235, v64, v235                              // 00000000C99C: 0BD7D740
	v_mul_f32_e32 v236, v64, v236                              // 00000000C9A0: 0BD9D940
	v_mul_f32_e32 v237, v64, v237                              // 00000000C9A4: 0BDBDB40
	v_mul_f32_e32 v238, v64, v238                              // 00000000C9A8: 0BDDDD40
	v_mul_f32_e32 v239, v64, v239                              // 00000000C9AC: 0BDFDF40
	s_waitcnt lgkmcnt(0)                                       // 00000000C9B0: BF8CC07F
	s_barrier                                                  // 00000000C9B4: BF8A0000
	ds_read_b32 v80, v10 offset:16896                          // 00000000C9B8: D86C4200 5000000A
	ds_read_b32 v81, v10 offset:16960                          // 00000000C9C0: D86C4240 5100000A
	ds_read_b32 v82, v10 offset:17024                          // 00000000C9C8: D86C4280 5200000A
	ds_read_b32 v83, v10 offset:17088                          // 00000000C9D0: D86C42C0 5300000A
	ds_read_b32 v84, v10 offset:17152                          // 00000000C9D8: D86C4300 5400000A
	ds_read_b32 v85, v10 offset:17216                          // 00000000C9E0: D86C4340 5500000A
	ds_read_b32 v86, v10 offset:17280                          // 00000000C9E8: D86C4380 5600000A
	ds_read_b32 v87, v10 offset:17344                          // 00000000C9F0: D86C43C0 5700000A
	ds_read_b32 v88, v10 offset:17408                          // 00000000C9F8: D86C4400 5800000A
	ds_read_b32 v89, v10 offset:17472                          // 00000000CA00: D86C4440 5900000A
	ds_read_b32 v90, v10 offset:17536                          // 00000000CA08: D86C4480 5A00000A
	ds_read_b32 v91, v10 offset:17600                          // 00000000CA10: D86C44C0 5B00000A
	ds_read_b32 v92, v10 offset:17664                          // 00000000CA18: D86C4500 5C00000A
	ds_read_b32 v93, v10 offset:17728                          // 00000000CA20: D86C4540 5D00000A
	ds_read_b32 v94, v10 offset:17792                          // 00000000CA28: D86C4580 5E00000A
	ds_read_b32 v95, v10 offset:17856                          // 00000000CA30: D86C45C0 5F00000A
	v_cvt_f32_i32_e32 v200, v200                               // 00000000CA38: 7F900BC8
	v_cvt_f32_i32_e32 v201, v201                               // 00000000CA3C: 7F920BC9
	v_cvt_f32_i32_e32 v202, v202                               // 00000000CA40: 7F940BCA
	v_cvt_f32_i32_e32 v203, v203                               // 00000000CA44: 7F960BCB
	v_cvt_f32_i32_e32 v204, v204                               // 00000000CA48: 7F980BCC
	v_cvt_f32_i32_e32 v205, v205                               // 00000000CA4C: 7F9A0BCD
	v_cvt_f32_i32_e32 v206, v206                               // 00000000CA50: 7F9C0BCE
	v_cvt_f32_i32_e32 v207, v207                               // 00000000CA54: 7F9E0BCF
	v_mul_f32_e32 v200, v59, v200                              // 00000000CA58: 0B91913B
	v_mul_f32_e32 v201, v59, v201                              // 00000000CA5C: 0B93933B
	v_mul_f32_e32 v202, v59, v202                              // 00000000CA60: 0B95953B
	v_mul_f32_e32 v203, v59, v203                              // 00000000CA64: 0B97973B
	v_mul_f32_e32 v204, v59, v204                              // 00000000CA68: 0B99993B
	v_mul_f32_e32 v205, v59, v205                              // 00000000CA6C: 0B9B9B3B
	v_mul_f32_e32 v206, v59, v206                              // 00000000CA70: 0B9D9D3B
	v_mul_f32_e32 v207, v59, v207                              // 00000000CA74: 0B9F9F3B
	s_waitcnt lgkmcnt(0)                                       // 00000000CA78: BF8CC07F
	v_max3_f32 v62, v80, v81, v62                              // 00000000CA7C: D1D3003E 04FAA350
	v_max3_f32 v62, v82, v83, v62                              // 00000000CA84: D1D3003E 04FAA752
	v_max3_f32 v62, v84, v85, v62                              // 00000000CA8C: D1D3003E 04FAAB54
	v_max3_f32 v62, v86, v87, v62                              // 00000000CA94: D1D3003E 04FAAF56
	v_max3_f32 v62, v88, v89, v62                              // 00000000CA9C: D1D3003E 04FAB358
	v_max3_f32 v62, v90, v91, v62                              // 00000000CAA4: D1D3003E 04FAB75A
	v_max3_f32 v62, v92, v93, v62                              // 00000000CAAC: D1D3003E 04FABB5C
	v_max3_f32 v62, v94, v95, v62                              // 00000000CAB4: D1D3003E 04FABF5E
	v_mov_b32_e32 v41, 0xff800000                              // 00000000CABC: 7E5202FF FF800000
	v_cmp_eq_u32_e64 s[40:41], v41, v15                        // 00000000CAC4: D0CA0028 00021F29
	s_nop 1                                                    // 00000000CACC: BF800001
	v_max_f32_e32 v18, v62, v15                                // 00000000CAD0: 16241F3E
	v_mul_f32_e32 v67, s64, v18                                // 00000000CAD4: 0A862440
	v_fma_f32 v144, v144, s64, -v67                            // 00000000CAD8: D1CB0090 850C8190
	v_fma_f32 v145, v145, s64, -v67                            // 00000000CAE0: D1CB0091 850C8191
	v_fma_f32 v146, v146, s64, -v67                            // 00000000CAE8: D1CB0092 850C8192
	v_fma_f32 v147, v147, s64, -v67                            // 00000000CAF0: D1CB0093 850C8193
	v_fma_f32 v148, v148, s64, -v67                            // 00000000CAF8: D1CB0094 850C8194
	v_fma_f32 v149, v149, s64, -v67                            // 00000000CB00: D1CB0095 850C8195
	v_fma_f32 v150, v150, s64, -v67                            // 00000000CB08: D1CB0096 850C8196
	v_fma_f32 v151, v151, s64, -v67                            // 00000000CB10: D1CB0097 850C8197
	v_fma_f32 v152, v152, s64, -v67                            // 00000000CB18: D1CB0098 850C8198
	v_fma_f32 v153, v153, s64, -v67                            // 00000000CB20: D1CB0099 850C8199
	v_fma_f32 v154, v154, s64, -v67                            // 00000000CB28: D1CB009A 850C819A
	v_fma_f32 v155, v155, s64, -v67                            // 00000000CB30: D1CB009B 850C819B
	v_fma_f32 v156, v156, s64, -v67                            // 00000000CB38: D1CB009C 850C819C
	v_fma_f32 v157, v157, s64, -v67                            // 00000000CB40: D1CB009D 850C819D
	v_fma_f32 v158, v158, s64, -v67                            // 00000000CB48: D1CB009E 850C819E
	v_fma_f32 v159, v159, s64, -v67                            // 00000000CB50: D1CB009F 850C819F
	v_exp_f32_e32 v144, v144                                   // 00000000CB58: 7F204190
	v_exp_f32_e32 v145, v145                                   // 00000000CB5C: 7F224191
	v_exp_f32_e32 v146, v146                                   // 00000000CB60: 7F244192
	v_exp_f32_e32 v147, v147                                   // 00000000CB64: 7F264193
	v_exp_f32_e32 v148, v148                                   // 00000000CB68: 7F284194
	v_exp_f32_e32 v149, v149                                   // 00000000CB6C: 7F2A4195
	v_exp_f32_e32 v150, v150                                   // 00000000CB70: 7F2C4196
	v_exp_f32_e32 v151, v151                                   // 00000000CB74: 7F2E4197
	v_exp_f32_e32 v152, v152                                   // 00000000CB78: 7F304198
	v_exp_f32_e32 v153, v153                                   // 00000000CB7C: 7F324199
	v_exp_f32_e32 v154, v154                                   // 00000000CB80: 7F34419A
	v_exp_f32_e32 v155, v155                                   // 00000000CB84: 7F36419B
	v_exp_f32_e32 v156, v156                                   // 00000000CB88: 7F38419C
	v_exp_f32_e32 v157, v157                                   // 00000000CB8C: 7F3A419D
	v_exp_f32_e32 v158, v158                                   // 00000000CB90: 7F3C419E
	v_exp_f32_e32 v159, v159                                   // 00000000CB94: 7F3E419F
	v_mul_f32_dpp v240, v252, v144 quad_perm:[0,0,0,0] row_mask:0xf bank_mask:0xf// 00000000CB98: 0BE120FA FF0000FC
	v_mul_f32_dpp v241, v252, v145 quad_perm:[1,1,1,1] row_mask:0xf bank_mask:0xf// 00000000CBA0: 0BE322FA FF0055FC
	v_mul_f32_dpp v242, v252, v146 quad_perm:[2,2,2,2] row_mask:0xf bank_mask:0xf// 00000000CBA8: 0BE524FA FF00AAFC
	v_mul_f32_dpp v243, v252, v147 quad_perm:[3,3,3,3] row_mask:0xf bank_mask:0xf// 00000000CBB0: 0BE726FA FF00FFFC
	v_mul_f32_dpp v244, v253, v148 quad_perm:[0,0,0,0] row_mask:0xf bank_mask:0xf// 00000000CBB8: 0BE928FA FF0000FD
	v_mul_f32_dpp v245, v253, v149 quad_perm:[1,1,1,1] row_mask:0xf bank_mask:0xf// 00000000CBC0: 0BEB2AFA FF0055FD
	v_mul_f32_dpp v246, v253, v150 quad_perm:[2,2,2,2] row_mask:0xf bank_mask:0xf// 00000000CBC8: 0BED2CFA FF00AAFD
	v_mul_f32_dpp v247, v253, v151 quad_perm:[3,3,3,3] row_mask:0xf bank_mask:0xf// 00000000CBD0: 0BEF2EFA FF00FFFD
	v_mul_f32_dpp v248, v254, v152 quad_perm:[0,0,0,0] row_mask:0xf bank_mask:0xf// 00000000CBD8: 0BF130FA FF0000FE
	v_mul_f32_dpp v249, v254, v153 quad_perm:[1,1,1,1] row_mask:0xf bank_mask:0xf// 00000000CBE0: 0BF332FA FF0055FE
	v_mul_f32_dpp v250, v254, v154 quad_perm:[2,2,2,2] row_mask:0xf bank_mask:0xf// 00000000CBE8: 0BF534FA FF00AAFE
	v_mul_f32_dpp v251, v254, v155 quad_perm:[3,3,3,3] row_mask:0xf bank_mask:0xf// 00000000CBF0: 0BF736FA FF00FFFE
	v_mul_f32_dpp v252, v255, v156 quad_perm:[0,0,0,0] row_mask:0xf bank_mask:0xf// 00000000CBF8: 0BF938FA FF0000FF
	v_mul_f32_dpp v253, v255, v157 quad_perm:[1,1,1,1] row_mask:0xf bank_mask:0xf// 00000000CC00: 0BFB3AFA FF0055FF
	v_mul_f32_dpp v254, v255, v158 quad_perm:[2,2,2,2] row_mask:0xf bank_mask:0xf// 00000000CC08: 0BFD3CFA FF00AAFF
	v_mul_f32_dpp v255, v255, v159 quad_perm:[3,3,3,3] row_mask:0xf bank_mask:0xf// 00000000CC10: 0BFF3EFA FF00FFFF
	v_mov_b32_e32 v62, 0x358637bd                              // 00000000CC18: 7E7C02FF 358637BD
	v_max3_f32 v62, |v240|, |v241|, v62                        // 00000000CC20: D1D3033E 04FBE3F0
	v_max3_f32 v62, |v242|, |v243|, v62                        // 00000000CC28: D1D3033E 04FBE7F2
	v_max3_f32 v62, |v244|, |v245|, v62                        // 00000000CC30: D1D3033E 04FBEBF4
	v_max3_f32 v62, |v246|, |v247|, v62                        // 00000000CC38: D1D3033E 04FBEFF6
	v_max3_f32 v62, |v248|, |v249|, v62                        // 00000000CC40: D1D3033E 04FBF3F8
	v_max3_f32 v62, |v250|, |v251|, v62                        // 00000000CC48: D1D3033E 04FBF7FA
	v_max3_f32 v62, |v252|, |v253|, v62                        // 00000000CC50: D1D3033E 04FBFBFC
	v_max3_f32 v62, |v254|, |v255|, v62                        // 00000000CC58: D1D3033E 04FBFFFE
	ds_write_b32 v11, v62 offset:20992                         // 00000000CC60: D81A5200 00003E0B
	v_sub_f32_e32 v64, v15, v18                                // 00000000CC68: 0480250F
	v_cndmask_b32_e64 v64, v64, 0, s[40:41]                    // 00000000CC6C: D1000040 00A10140
	v_mov_b32_e32 v15, v18                                     // 00000000CC74: 7E1E0312
	v_mul_f32_e32 v64, s64, v64                                // 00000000CC78: 0A808040
	v_exp_f32_e32 v64, v64                                     // 00000000CC7C: 7E804140
	s_waitcnt lgkmcnt(0)                                       // 00000000CC80: BF8CC07F
	s_barrier                                                  // 00000000CC84: BF8A0000
	ds_read_b32 v80, v10 offset:20992                          // 00000000CC88: D86C5200 5000000A
	ds_read_b32 v81, v10 offset:21056                          // 00000000CC90: D86C5240 5100000A
	ds_read_b32 v82, v10 offset:21120                          // 00000000CC98: D86C5280 5200000A
	ds_read_b32 v83, v10 offset:21184                          // 00000000CCA0: D86C52C0 5300000A
	ds_read_b32 v84, v10 offset:21248                          // 00000000CCA8: D86C5300 5400000A
	ds_read_b32 v85, v10 offset:21312                          // 00000000CCB0: D86C5340 5500000A
	ds_read_b32 v86, v10 offset:21376                          // 00000000CCB8: D86C5380 5600000A
	ds_read_b32 v87, v10 offset:21440                          // 00000000CCC0: D86C53C0 5700000A
	ds_read_b32 v88, v10 offset:21504                          // 00000000CCC8: D86C5400 5800000A
	ds_read_b32 v89, v10 offset:21568                          // 00000000CCD0: D86C5440 5900000A
	ds_read_b32 v90, v10 offset:21632                          // 00000000CCD8: D86C5480 5A00000A
	ds_read_b32 v91, v10 offset:21696                          // 00000000CCE0: D86C54C0 5B00000A
	ds_read_b32 v92, v10 offset:21760                          // 00000000CCE8: D86C5500 5C00000A
	ds_read_b32 v93, v10 offset:21824                          // 00000000CCF0: D86C5540 5D00000A
	ds_read_b32 v94, v10 offset:21888                          // 00000000CCF8: D86C5580 5E00000A
	ds_read_b32 v95, v10 offset:21952                          // 00000000CD00: D86C55C0 5F00000A
	v_mul_f32_e32 v48, v64, v48                                // 00000000CD08: 0A606140
	v_mov_b32_e32 v18, v144                                    // 00000000CD0C: 7E240390
	v_add_f32_e32 v18, v145, v18                               // 00000000CD10: 02242591
	v_add_f32_e32 v18, v146, v18                               // 00000000CD14: 02242592
	v_add_f32_e32 v18, v147, v18                               // 00000000CD18: 02242593
	v_add_f32_e32 v18, v148, v18                               // 00000000CD1C: 02242594
	v_add_f32_e32 v18, v149, v18                               // 00000000CD20: 02242595
	v_add_f32_e32 v18, v150, v18                               // 00000000CD24: 02242596
	v_add_f32_e32 v18, v151, v18                               // 00000000CD28: 02242597
	v_add_f32_e32 v18, v152, v18                               // 00000000CD2C: 02242598
	v_add_f32_e32 v18, v153, v18                               // 00000000CD30: 02242599
	v_add_f32_e32 v18, v154, v18                               // 00000000CD34: 0224259A
	v_add_f32_e32 v18, v155, v18                               // 00000000CD38: 0224259B
	v_add_f32_e32 v18, v156, v18                               // 00000000CD3C: 0224259C
	v_add_f32_e32 v18, v157, v18                               // 00000000CD40: 0224259D
	v_add_f32_e32 v18, v158, v18                               // 00000000CD44: 0224259E
	v_add_f32_e32 v18, v159, v18                               // 00000000CD48: 0224259F
	v_add_f32_e32 v48, v18, v48                                // 00000000CD4C: 02606112
	s_waitcnt lgkmcnt(0)                                       // 00000000CD50: BF8CC07F
	v_max3_f32 v62, |v80|, |v81|, v62                          // 00000000CD54: D1D3033E 04FAA350
	v_max3_f32 v62, |v82|, |v83|, v62                          // 00000000CD5C: D1D3033E 04FAA752
	v_max3_f32 v62, |v84|, |v85|, v62                          // 00000000CD64: D1D3033E 04FAAB54
	v_max3_f32 v62, |v86|, |v87|, v62                          // 00000000CD6C: D1D3033E 04FAAF56
	v_max3_f32 v62, |v88|, |v89|, v62                          // 00000000CD74: D1D3033E 04FAB358
	v_max3_f32 v62, |v90|, |v91|, v62                          // 00000000CD7C: D1D3033E 04FAB75A
	v_max3_f32 v62, |v92|, |v93|, v62                          // 00000000CD84: D1D3033E 04FABB5C
	v_max3_f32 v62, |v94|, |v95|, v62                          // 00000000CD8C: D1D3033E 04FABF5E
	s_nop 2                                                    // 00000000CD94: BF800002
	v_rcp_f32_e32 v62, v62                                     // 00000000CD98: 7E7C453E
	s_nop 1                                                    // 00000000CD9C: BF800001
	v_mul_f32_e32 v62, 0x42fe0000, v62                         // 00000000CDA0: 0A7C7CFF 42FE0000
	v_mul_f32_e32 v144, v62, v240                              // 00000000CDA8: 0B21E13E
	v_mul_f32_e32 v145, v62, v241                              // 00000000CDAC: 0B23E33E
	v_mul_f32_e32 v146, v62, v242                              // 00000000CDB0: 0B25E53E
	v_mul_f32_e32 v147, v62, v243                              // 00000000CDB4: 0B27E73E
	v_mul_f32_e32 v148, v62, v244                              // 00000000CDB8: 0B29E93E
	v_mul_f32_e32 v149, v62, v245                              // 00000000CDBC: 0B2BEB3E
	v_mul_f32_e32 v150, v62, v246                              // 00000000CDC0: 0B2DED3E
	v_mul_f32_e32 v151, v62, v247                              // 00000000CDC4: 0B2FEF3E
	v_mul_f32_e32 v152, v62, v248                              // 00000000CDC8: 0B31F13E
	v_mul_f32_e32 v153, v62, v249                              // 00000000CDCC: 0B33F33E
	v_mul_f32_e32 v154, v62, v250                              // 00000000CDD0: 0B35F53E
	v_mul_f32_e32 v155, v62, v251                              // 00000000CDD4: 0B37F73E
	v_mul_f32_e32 v156, v62, v252                              // 00000000CDD8: 0B39F93E
	v_mul_f32_e32 v157, v62, v253                              // 00000000CDDC: 0B3BFB3E
	v_mul_f32_e32 v158, v62, v254                              // 00000000CDE0: 0B3DFD3E
	v_mul_f32_e32 v159, v62, v255                              // 00000000CDE4: 0B3FFF3E
	v_cvt_i32_f32_e32 v144, v144                               // 00000000CDE8: 7F201190
	v_cvt_i32_f32_e32 v145, v145                               // 00000000CDEC: 7F221191
	v_cvt_i32_f32_e32 v146, v146                               // 00000000CDF0: 7F241192
	v_cvt_i32_f32_e32 v147, v147                               // 00000000CDF4: 7F261193
	v_cvt_i32_f32_e32 v148, v148                               // 00000000CDF8: 7F281194
	v_cvt_i32_f32_e32 v149, v149                               // 00000000CDFC: 7F2A1195
	v_cvt_i32_f32_e32 v150, v150                               // 00000000CE00: 7F2C1196
	v_cvt_i32_f32_e32 v151, v151                               // 00000000CE04: 7F2E1197
	v_cvt_i32_f32_e32 v152, v152                               // 00000000CE08: 7F301198
	v_cvt_i32_f32_e32 v153, v153                               // 00000000CE0C: 7F321199
	v_cvt_i32_f32_e32 v154, v154                               // 00000000CE10: 7F34119A
	v_cvt_i32_f32_e32 v155, v155                               // 00000000CE14: 7F36119B
	v_cvt_i32_f32_e32 v156, v156                               // 00000000CE18: 7F38119C
	v_cvt_i32_f32_e32 v157, v157                               // 00000000CE1C: 7F3A119D
	v_cvt_i32_f32_e32 v158, v158                               // 00000000CE20: 7F3C119E
	v_cvt_i32_f32_e32 v159, v159                               // 00000000CE24: 7F3E119F
	v_perm_b32 v144, v145, v144, s53                           // 00000000CE28: D1ED0090 00D72191
	v_perm_b32 v144, v146, v144, s54                           // 00000000CE30: D1ED0090 00DB2192
	v_perm_b32 v144, v147, v144, s55                           // 00000000CE38: D1ED0090 00DF2193
	v_perm_b32 v145, v149, v148, s53                           // 00000000CE40: D1ED0091 00D72995
	v_perm_b32 v145, v150, v145, s54                           // 00000000CE48: D1ED0091 00DB2396
	v_perm_b32 v145, v151, v145, s55                           // 00000000CE50: D1ED0091 00DF2397
	v_perm_b32 v146, v153, v152, s53                           // 00000000CE58: D1ED0092 00D73199
	v_perm_b32 v146, v154, v146, s54                           // 00000000CE60: D1ED0092 00DB259A
	v_perm_b32 v146, v155, v146, s55                           // 00000000CE68: D1ED0092 00DF259B
	v_perm_b32 v147, v157, v156, s53                           // 00000000CE70: D1ED0093 00D7399D
	v_perm_b32 v147, v158, v147, s54                           // 00000000CE78: D1ED0093 00DB279E
	v_perm_b32 v147, v159, v147, s55                           // 00000000CE80: D1ED0093 00DF279F
	ds_write_b32 v13, v144 offset:29184                        // 00000000CE88: D81A7200 0000900D
	ds_write_b32 v13, v145 offset:30208                        // 00000000CE90: D81A7600 0000910D
	ds_write_b32 v13, v146 offset:31232                        // 00000000CE98: D81A7A00 0000920D
	ds_write_b32 v13, v147 offset:32256                        // 00000000CEA0: D81A7E00 0000930D
	v_add_f32_e32 v232, v232, v200                             // 00000000CEA8: 03D191E8
	v_add_f32_e32 v233, v233, v201                             // 00000000CEAC: 03D393E9
	v_add_f32_e32 v234, v234, v202                             // 00000000CEB0: 03D595EA
	v_add_f32_e32 v235, v235, v203                             // 00000000CEB4: 03D797EB
	v_add_f32_e32 v236, v236, v204                             // 00000000CEB8: 03D999EC
	v_add_f32_e32 v237, v237, v205                             // 00000000CEBC: 03DB9BED
	v_add_f32_e32 v238, v238, v206                             // 00000000CEC0: 03DD9DEE
	v_add_f32_e32 v239, v239, v207                             // 00000000CEC4: 03DF9FEF
	v_rcp_f32_e32 v59, v62                                     // 00000000CEC8: 7E76453E
	s_waitcnt lgkmcnt(0)                                       // 00000000CECC: BF8CC07F
	s_barrier                                                  // 00000000CED0: BF8A0000
	ds_read_b64 v[144:145], v12 offset:29184                   // 00000000CED4: D8EC7200 9000000C
	ds_read_b64 v[146:147], v12 offset:29312                   // 00000000CEDC: D8EC7280 9200000C
	ds_read_b64 v[148:149], v12 offset:30208                   // 00000000CEE4: D8EC7600 9400000C
	ds_read_b64 v[150:151], v12 offset:30336                   // 00000000CEEC: D8EC7680 9600000C
	ds_read_b64 v[152:153], v12 offset:31232                   // 00000000CEF4: D8EC7A00 9800000C
	ds_read_b64 v[154:155], v12 offset:31360                   // 00000000CEFC: D8EC7A80 9A00000C
	ds_read_b64 v[156:157], v12 offset:32256                   // 00000000CF04: D8EC7E00 9C00000C
	ds_read_b64 v[158:159], v12 offset:32384                   // 00000000CF0C: D8EC7E80 9E00000C
	s_waitcnt vmcnt(15)                                        // 00000000CF14: BF8C0F7F
	v_mfma_i32_16x16x32_i8 v[192:195], a[96:97], v[128:129], 0 // 00000000CF18: D3D700C0 0A030160
	v_mfma_i32_16x16x32_i8 v[192:195], a[98:99], v[130:131], v[192:195]// 00000000CF20: D3D700C0 0F030562
	buffer_load_dwordx4 a[80:83], v33, s[20:23], 0 offen offset:1024// 00000000CF28: E05C1400 80855021
	v_mfma_i32_16x16x32_i8 v[192:195], a[100:101], v[132:133], v[192:195]// 00000000CF30: D3D700C0 0F030964
	v_mfma_i32_16x16x32_i8 v[192:195], a[102:103], v[134:135], v[192:195]// 00000000CF38: D3D700C0 0F030D66
	v_mfma_i32_16x16x32_i8 v[192:195], a[104:105], v[136:137], v[192:195]// 00000000CF40: D3D700C0 0F031168
	v_mfma_i32_16x16x32_i8 v[192:195], a[106:107], v[138:139], v[192:195]// 00000000CF48: D3D700C0 0F03156A
	buffer_load_dwordx4 a[84:87], v34, s[20:23], 0 offen offset:1024// 00000000CF50: E05C1400 80855422
	v_mfma_i32_16x16x32_i8 v[192:195], a[108:109], v[140:141], v[192:195]// 00000000CF58: D3D700C0 0F03196C
	v_mfma_i32_16x16x32_i8 v[192:195], a[110:111], v[142:143], v[192:195]// 00000000CF60: D3D700C0 0F031D6E
	v_mfma_i32_16x16x32_i8 v[196:199], a[112:113], v[128:129], 0// 00000000CF68: D3D700C4 0A030170
	v_mfma_i32_16x16x32_i8 v[196:199], a[114:115], v[130:131], v[196:199]// 00000000CF70: D3D700C4 0F130572
	buffer_load_dwordx4 a[88:91], v35, s[20:23], 0 offen offset:1024// 00000000CF78: E05C1400 80855823
	v_mfma_i32_16x16x32_i8 v[196:199], a[116:117], v[132:133], v[196:199]// 00000000CF80: D3D700C4 0F130974
	v_mfma_i32_16x16x32_i8 v[196:199], a[118:119], v[134:135], v[196:199]// 00000000CF88: D3D700C4 0F130D76
	v_mfma_i32_16x16x32_i8 v[196:199], a[120:121], v[136:137], v[196:199]// 00000000CF90: D3D700C4 0F131178
	v_mfma_i32_16x16x32_i8 v[196:199], a[122:123], v[138:139], v[196:199]// 00000000CF98: D3D700C4 0F13157A
	buffer_load_dwordx4 a[92:95], v36, s[20:23], 0 offen offset:1024// 00000000CFA0: E05C1400 80855C24
	v_mfma_i32_16x16x32_i8 v[196:199], a[124:125], v[140:141], v[196:199]// 00000000CFA8: D3D700C4 0F13197C
	s_lshr_b32 s57, s70, 4                                     // 00000000CFB0: 8F398446
	s_add_u32 s57, 48, s57                                     // 00000000CFB4: 803939B0
	v_mfma_i32_16x16x32_i8 v[196:199], a[126:127], v[142:143], v[196:199]// 00000000CFB8: D3D700C4 0F131D7E
	s_cmp_ge_u32 s57, s73                                      // 00000000CFC0: BF094939
	s_cselect_b32 s56, 0, s56                                  // 00000000CFC4: 85383880
	v_mfma_i32_16x16x32_i8 v[200:203], a[96:97], v[144:145], 0 // 00000000CFC8: D3D700C8 0A032160
	v_mfma_i32_16x16x32_i8 v[200:203], a[98:99], v[146:147], v[200:203]// 00000000CFD0: D3D700C8 0F232562
	v_mfma_i32_16x16x32_i8 v[200:203], a[100:101], v[148:149], v[200:203]// 00000000CFD8: D3D700C8 0F232964
	v_mfma_i32_16x16x32_i8 v[200:203], a[102:103], v[150:151], v[200:203]// 00000000CFE0: D3D700C8 0F232D66
	v_mfma_i32_16x16x32_i8 v[200:203], a[104:105], v[152:153], v[200:203]// 00000000CFE8: D3D700C8 0F233168
	v_mfma_i32_16x16x32_i8 v[200:203], a[106:107], v[154:155], v[200:203]// 00000000CFF0: D3D700C8 0F23356A
	v_mfma_i32_16x16x32_i8 v[200:203], a[108:109], v[156:157], v[200:203]// 00000000CFF8: D3D700C8 0F23396C
	v_mfma_i32_16x16x32_i8 v[200:203], a[110:111], v[158:159], v[200:203]// 00000000D000: D3D700C8 0F233D6E
	v_mfma_i32_16x16x32_i8 v[204:207], a[112:113], v[144:145], 0// 00000000D008: D3D700CC 0A032170
	v_mfma_i32_16x16x32_i8 v[204:207], a[114:115], v[146:147], v[204:207]// 00000000D010: D3D700CC 0F332572
	v_mfma_i32_16x16x32_i8 v[204:207], a[116:117], v[148:149], v[204:207]// 00000000D018: D3D700CC 0F332974
	v_mfma_i32_16x16x32_i8 v[204:207], a[118:119], v[150:151], v[204:207]// 00000000D020: D3D700CC 0F332D76
	v_mfma_i32_16x16x32_i8 v[204:207], a[120:121], v[152:153], v[204:207]// 00000000D028: D3D700CC 0F333178
	v_mfma_i32_16x16x32_i8 v[204:207], a[122:123], v[154:155], v[204:207]// 00000000D030: D3D700CC 0F33357A
	v_mfma_i32_16x16x32_i8 v[204:207], a[124:125], v[156:157], v[204:207]// 00000000D038: D3D700CC 0F33397C
	v_mfma_i32_16x16x32_i8 v[204:207], a[126:127], v[158:159], v[204:207]// 00000000D040: D3D700CC 0F333D7E
	v_add_u32_e32 v1, s56, v1                                  // 00000000D048: 68020238
	s_addk_i32 s70, 0x100                                      // 00000000D04C: B7460100
	s_cmp_lt_i32 s70, s71                                      // 00000000D050: BF044746
	s_cbranch_scc0 label_2B97                                  // 00000000D054: BF840001
	s_branch label_225A                                        // 00000000D058: BF82F6C3

000000000000d05c <label_2B97>:
	s_nop 0                                                    // 00000000D05C: BF800000
	s_nop 0                                                    // 00000000D060: BF800000
	s_branch label_34D7                                        // 00000000D064: BF82093D

000000000000d068 <label_2B9A>:
	s_waitcnt vmcnt(8) lgkmcnt(0)                              // 00000000D068: BF8C0078
	v_mul_u32_u24_dpp v41, v20, v68 row_newbcast:0 row_mask:0xf bank_mask:0xf// 00000000D06C: 105288FA FF015014
	v_mul_u32_u24_dpp v42, v20, v68 row_newbcast:4 row_mask:0xf bank_mask:0xf// 00000000D074: 105488FA FF015414
	v_mul_u32_u24_dpp v43, v20, v68 row_newbcast:8 row_mask:0xf bank_mask:0xf// 00000000D07C: 105688FA FF015814
	v_mul_u32_u24_dpp v44, v20, v68 row_newbcast:12 row_mask:0xf bank_mask:0xf// 00000000D084: 105888FA FF015C14
	v_add_u32_e32 v29, v41, v6                                 // 00000000D08C: 683A0D29
	v_add_u32_e32 v30, v42, v6                                 // 00000000D090: 683C0D2A
	v_add_u32_e32 v31, v43, v6                                 // 00000000D094: 683E0D2B
	v_add_u32_e32 v32, v44, v6                                 // 00000000D098: 68400D2C
	v_mul_u32_u24_dpp v41, v20, v78 quad_perm:[0,0,0,0] row_mask:0xf bank_mask:0xf// 00000000D09C: 10529CFA FF000014
	v_add_u32_e32 v3, v41, v74                                 // 00000000D0A4: 68069529
	v_mul_u32_u24_dpp v41, v20, v78 quad_perm:[0,0,0,0] row_mask:0xf bank_mask:0xf// 00000000D0A8: 10529CFA FF000014
	v_add_u32_e32 v71, v41, v75                                // 00000000D0B0: 688E9729
	v_mfma_i32_16x16x32_i8 v[128:131], a[0:1], v[96:97], 0     // 00000000D0B4: D3D70080 0A02C100
	buffer_load_dwordx4 a[32:35], v29, s[16:19], 0 offen       // 00000000D0BC: E05C1000 8084201D
	v_mfma_i32_16x16x32_i8 v[128:131], a[2:3], v[98:99], v[128:131]// 00000000D0C4: D3D70080 0E02C502
	v_mfma_i32_16x16x32_i8 v[128:131], a[4:5], v[100:101], v[128:131]// 00000000D0CC: D3D70080 0E02C904
	buffer_load_dword v19, v1, s[24:27], 0 offen               // 00000000D0D4: E0501000 80061301
	v_mfma_i32_16x16x32_i8 v[128:131], a[6:7], v[102:103], v[128:131]// 00000000D0DC: D3D70080 0E02CD06
	v_mfma_i32_16x16x32_i8 v[132:135], a[8:9], v[96:97], 0     // 00000000D0E4: D3D70084 0A02C108
	buffer_load_dwordx4 a[36:39], v29, s[16:19], 0 offen offset:1024// 00000000D0EC: E05C1400 8084241D
	v_mfma_i32_16x16x32_i8 v[132:135], a[10:11], v[98:99], v[132:135]// 00000000D0F4: D3D70084 0E12C50A
	v_mfma_i32_16x16x32_i8 v[132:135], a[12:13], v[100:101], v[132:135]// 00000000D0FC: D3D70084 0E12C90C
	v_mfma_i32_16x16x32_i8 v[132:135], a[14:15], v[102:103], v[132:135]// 00000000D104: D3D70084 0E12CD0E
	v_mfma_i32_16x16x32_i8 v[136:139], a[16:17], v[96:97], 0   // 00000000D10C: D3D70088 0A02C110
	buffer_load_dwordx4 a[40:43], v30, s[16:19], 0 offen       // 00000000D114: E05C1000 8084281E
	v_mfma_i32_16x16x32_i8 v[136:139], a[18:19], v[98:99], v[136:139]// 00000000D11C: D3D70088 0E22C512
	v_mfma_i32_16x16x32_i8 v[136:139], a[20:21], v[100:101], v[136:139]// 00000000D124: D3D70088 0E22C914
	v_mfma_i32_16x16x32_i8 v[136:139], a[22:23], v[102:103], v[136:139]// 00000000D12C: D3D70088 0E22CD16
	v_mfma_i32_16x16x32_i8 v[140:143], a[24:25], v[96:97], 0   // 00000000D134: D3D7008C 0A02C118
	buffer_load_dwordx4 a[44:47], v30, s[16:19], 0 offen offset:1024// 00000000D13C: E05C1400 80842C1E
	v_mfma_i32_16x16x32_i8 v[140:143], a[26:27], v[98:99], v[140:143]// 00000000D144: D3D7008C 0E32C51A
	v_mfma_i32_16x16x32_i8 v[140:143], a[28:29], v[100:101], v[140:143]// 00000000D14C: D3D7008C 0E32C91C
	v_mfma_i32_16x16x32_i8 v[140:143], a[30:31], v[102:103], v[140:143]// 00000000D154: D3D7008C 0E32CD1E
	v_mfma_i32_16x16x32_i8 v[144:147], a[0:1], v[104:105], 0   // 00000000D15C: D3D70090 0A02D100
	v_mfma_i32_16x16x32_i8 v[144:147], a[2:3], v[106:107], v[144:147]// 00000000D164: D3D70090 0E42D502
	v_mfma_i32_16x16x32_i8 v[144:147], a[4:5], v[108:109], v[144:147]// 00000000D16C: D3D70090 0E42D904
	v_mfma_i32_16x16x32_i8 v[144:147], a[6:7], v[110:111], v[144:147]// 00000000D174: D3D70090 0E42DD06
	v_mfma_i32_16x16x32_i8 v[148:151], a[8:9], v[104:105], 0   // 00000000D17C: D3D70094 0A02D108
	v_mfma_i32_16x16x32_i8 v[148:151], a[10:11], v[106:107], v[148:151]// 00000000D184: D3D70094 0E52D50A
	v_mfma_i32_16x16x32_i8 v[148:151], a[12:13], v[108:109], v[148:151]// 00000000D18C: D3D70094 0E52D90C
	v_mfma_i32_16x16x32_i8 v[148:151], a[14:15], v[110:111], v[148:151]// 00000000D194: D3D70094 0E52DD0E
	v_mfma_i32_16x16x32_i8 v[152:155], a[16:17], v[104:105], 0 // 00000000D19C: D3D70098 0A02D110
	v_mfma_i32_16x16x32_i8 v[152:155], a[18:19], v[106:107], v[152:155]// 00000000D1A4: D3D70098 0E62D512
	v_mfma_i32_16x16x32_i8 v[152:155], a[20:21], v[108:109], v[152:155]// 00000000D1AC: D3D70098 0E62D914
	v_mfma_i32_16x16x32_i8 v[152:155], a[22:23], v[110:111], v[152:155]// 00000000D1B4: D3D70098 0E62DD16
	v_mfma_i32_16x16x32_i8 v[156:159], a[24:25], v[104:105], 0 // 00000000D1BC: D3D7009C 0A02D118
	v_mfma_i32_16x16x32_i8 v[156:159], a[26:27], v[106:107], v[156:159]// 00000000D1C4: D3D7009C 0E72D51A
	v_mfma_i32_16x16x32_i8 v[156:159], a[28:29], v[108:109], v[156:159]// 00000000D1CC: D3D7009C 0E72D91C
	v_mfma_i32_16x16x32_i8 v[156:159], a[30:31], v[110:111], v[156:159]// 00000000D1D4: D3D7009C 0E72DD1E
	buffer_load_dword v53, v3, s[32:35], 0 offen               // 00000000D1DC: E0501000 80083503
	v_mov_b32_dpp v41, v52 row_shr:4 row_mask:0xf bank_mask:0xf// 00000000D1E4: 7E5202FA FF011434
	v_mov_b32_dpp v42, v52 row_shl:4 row_mask:0xf bank_mask:0xf// 00000000D1EC: 7E5402FA FF010434
	v_cndmask_b32_e64 v248, v52, v41, s[44:45]                 // 00000000D1F4: D10000F8 00B25334
	v_cndmask_b32_e64 v249, v42, v52, s[44:45]                 // 00000000D1FC: D10000F9 00B2692A
	v_mov_b32_dpp v41, v248 row_shr:8 row_mask:0xf bank_mask:0xf// 00000000D204: 7E5202FA FF0118F8
	v_mov_b32_dpp v42, v248 row_shl:8 row_mask:0xf bank_mask:0xf// 00000000D20C: 7E5402FA FF0108F8
	v_mov_b32_dpp v43, v249 row_shr:8 row_mask:0xf bank_mask:0xf// 00000000D214: 7E5602FA FF0118F9
	v_mov_b32_dpp v44, v249 row_shl:8 row_mask:0xf bank_mask:0xf// 00000000D21C: 7E5802FA FF0108F9
	v_mov_b32_e32 v45, v248                                    // 00000000D224: 7E5A03F8
	v_mov_b32_e32 v46, v249                                    // 00000000D228: 7E5C03F9
	v_cndmask_b32_e64 v248, v45, v41, s[42:43]                 // 00000000D22C: D10000F8 00AA532D
	v_cndmask_b32_e64 v250, v45, v42, s[78:79]                 // 00000000D234: D10000FA 013A552D
	v_cndmask_b32_e64 v249, v46, v43, s[42:43]                 // 00000000D23C: D10000F9 00AA572E
	v_cndmask_b32_e64 v251, v46, v44, s[78:79]                 // 00000000D244: D10000FB 013A592E
	v_mov_b32_dpp v41, v72 row_shr:4 row_mask:0xf bank_mask:0xf// 00000000D24C: 7E5202FA FF011448
	v_mov_b32_dpp v42, v72 row_shl:4 row_mask:0xf bank_mask:0xf// 00000000D254: 7E5402FA FF010448
	v_cndmask_b32_e64 v252, v72, v41, s[44:45]                 // 00000000D25C: D10000FC 00B25348
	v_cndmask_b32_e64 v253, v42, v72, s[44:45]                 // 00000000D264: D10000FD 00B2912A
	v_mov_b32_dpp v41, v252 row_shr:8 row_mask:0xf bank_mask:0xf// 00000000D26C: 7E5202FA FF0118FC
	v_mov_b32_dpp v42, v252 row_shl:8 row_mask:0xf bank_mask:0xf// 00000000D274: 7E5402FA FF0108FC
	v_mov_b32_dpp v43, v253 row_shr:8 row_mask:0xf bank_mask:0xf// 00000000D27C: 7E5602FA FF0118FD
	v_mov_b32_dpp v44, v253 row_shl:8 row_mask:0xf bank_mask:0xf// 00000000D284: 7E5802FA FF0108FD
	v_mov_b32_e32 v45, v252                                    // 00000000D28C: 7E5A03FC
	v_mov_b32_e32 v46, v253                                    // 00000000D290: 7E5C03FD
	v_cndmask_b32_e64 v252, v45, v41, s[42:43]                 // 00000000D294: D10000FC 00AA532D
	v_cndmask_b32_e64 v254, v45, v42, s[78:79]                 // 00000000D29C: D10000FE 013A552D
	v_cndmask_b32_e64 v253, v46, v43, s[42:43]                 // 00000000D2A4: D10000FD 00AA572E
	v_cndmask_b32_e64 v255, v46, v44, s[78:79]                 // 00000000D2AC: D10000FF 013A592E
	buffer_load_dword v73, v71, s[36:39], 0 offen              // 00000000D2B4: E0501000 80094947
	v_cvt_f32_i32_e32 v128, v128                               // 00000000D2BC: 7F000B80
	v_cvt_f32_i32_e32 v129, v129                               // 00000000D2C0: 7F020B81
	v_cvt_f32_i32_e32 v130, v130                               // 00000000D2C4: 7F040B82
	v_cvt_f32_i32_e32 v131, v131                               // 00000000D2C8: 7F060B83
	v_cvt_f32_i32_e32 v132, v132                               // 00000000D2CC: 7F080B84
	v_cvt_f32_i32_e32 v133, v133                               // 00000000D2D0: 7F0A0B85
	v_cvt_f32_i32_e32 v134, v134                               // 00000000D2D4: 7F0C0B86
	v_cvt_f32_i32_e32 v135, v135                               // 00000000D2D8: 7F0E0B87
	v_cvt_f32_i32_e32 v136, v136                               // 00000000D2DC: 7F100B88
	v_cvt_f32_i32_e32 v137, v137                               // 00000000D2E0: 7F120B89
	v_cvt_f32_i32_e32 v138, v138                               // 00000000D2E4: 7F140B8A
	v_cvt_f32_i32_e32 v139, v139                               // 00000000D2E8: 7F160B8B
	v_cvt_f32_i32_e32 v140, v140                               // 00000000D2EC: 7F180B8C
	v_cvt_f32_i32_e32 v141, v141                               // 00000000D2F0: 7F1A0B8D
	v_cvt_f32_i32_e32 v142, v142                               // 00000000D2F4: 7F1C0B8E
	v_cvt_f32_i32_e32 v143, v143                               // 00000000D2F8: 7F1E0B8F
	v_mul_f32_e32 v128, v54, v128                              // 00000000D2FC: 0B010136
	v_mul_f32_e32 v129, v54, v129                              // 00000000D300: 0B030336
	v_mul_f32_e32 v130, v54, v130                              // 00000000D304: 0B050536
	v_mul_f32_e32 v131, v54, v131                              // 00000000D308: 0B070736
	v_mul_f32_e32 v132, v54, v132                              // 00000000D30C: 0B090936
	v_mul_f32_e32 v133, v54, v133                              // 00000000D310: 0B0B0B36
	v_mul_f32_e32 v134, v54, v134                              // 00000000D314: 0B0D0D36
	v_mul_f32_e32 v135, v54, v135                              // 00000000D318: 0B0F0F36
	v_mul_f32_e32 v136, v54, v136                              // 00000000D31C: 0B111136
	v_mul_f32_e32 v137, v54, v137                              // 00000000D320: 0B131336
	v_mul_f32_e32 v138, v54, v138                              // 00000000D324: 0B151536
	v_mul_f32_e32 v139, v54, v139                              // 00000000D328: 0B171736
	v_mul_f32_e32 v140, v54, v140                              // 00000000D32C: 0B191936
	v_mul_f32_e32 v141, v54, v141                              // 00000000D330: 0B1B1B36
	v_mul_f32_e32 v142, v54, v142                              // 00000000D334: 0B1D1D36
	v_mul_f32_e32 v143, v54, v143                              // 00000000D338: 0B1F1F36
	buffer_load_dwordx4 a[48:51], v31, s[16:19], 0 offen       // 00000000D33C: E05C1000 8084301F
	v_mul_f32_dpp v128, v248, v128 quad_perm:[0,0,0,0] row_mask:0xf bank_mask:0xf// 00000000D344: 0B0100FA FF0000F8
	v_mul_f32_dpp v129, v248, v129 quad_perm:[1,1,1,1] row_mask:0xf bank_mask:0xf// 00000000D34C: 0B0302FA FF0055F8
	v_mul_f32_dpp v130, v248, v130 quad_perm:[2,2,2,2] row_mask:0xf bank_mask:0xf// 00000000D354: 0B0504FA FF00AAF8
	v_mul_f32_dpp v131, v248, v131 quad_perm:[3,3,3,3] row_mask:0xf bank_mask:0xf// 00000000D35C: 0B0706FA FF00FFF8
	v_mul_f32_dpp v132, v249, v132 quad_perm:[0,0,0,0] row_mask:0xf bank_mask:0xf// 00000000D364: 0B0908FA FF0000F9
	v_mul_f32_dpp v133, v249, v133 quad_perm:[1,1,1,1] row_mask:0xf bank_mask:0xf// 00000000D36C: 0B0B0AFA FF0055F9
	v_mul_f32_dpp v134, v249, v134 quad_perm:[2,2,2,2] row_mask:0xf bank_mask:0xf// 00000000D374: 0B0D0CFA FF00AAF9
	v_mul_f32_dpp v135, v249, v135 quad_perm:[3,3,3,3] row_mask:0xf bank_mask:0xf// 00000000D37C: 0B0F0EFA FF00FFF9
	v_mul_f32_dpp v136, v250, v136 quad_perm:[0,0,0,0] row_mask:0xf bank_mask:0xf// 00000000D384: 0B1110FA FF0000FA
	v_mul_f32_dpp v137, v250, v137 quad_perm:[1,1,1,1] row_mask:0xf bank_mask:0xf// 00000000D38C: 0B1312FA FF0055FA
	v_mul_f32_dpp v138, v250, v138 quad_perm:[2,2,2,2] row_mask:0xf bank_mask:0xf// 00000000D394: 0B1514FA FF00AAFA
	v_mul_f32_dpp v139, v250, v139 quad_perm:[3,3,3,3] row_mask:0xf bank_mask:0xf// 00000000D39C: 0B1716FA FF00FFFA
	v_mul_f32_dpp v140, v251, v140 quad_perm:[0,0,0,0] row_mask:0xf bank_mask:0xf// 00000000D3A4: 0B1918FA FF0000FB
	v_mul_f32_dpp v141, v251, v141 quad_perm:[1,1,1,1] row_mask:0xf bank_mask:0xf// 00000000D3AC: 0B1B1AFA FF0055FB
	v_mul_f32_dpp v142, v251, v142 quad_perm:[2,2,2,2] row_mask:0xf bank_mask:0xf// 00000000D3B4: 0B1D1CFA FF00AAFB
	v_mul_f32_dpp v143, v251, v143 quad_perm:[3,3,3,3] row_mask:0xf bank_mask:0xf// 00000000D3BC: 0B1F1EFA FF00FFFB
	buffer_load_dwordx4 a[52:55], v31, s[16:19], 0 offen offset:1024// 00000000D3C4: E05C1400 8084341F
	v_mov_b32_e32 v62, v128                                    // 00000000D3CC: 7E7C0380
	v_max3_f32 v62, v128, v129, v62                            // 00000000D3D0: D1D3003E 04FB0380
	v_max3_f32 v62, v130, v131, v62                            // 00000000D3D8: D1D3003E 04FB0782
	v_max3_f32 v62, v132, v133, v62                            // 00000000D3E0: D1D3003E 04FB0B84
	v_max3_f32 v62, v134, v135, v62                            // 00000000D3E8: D1D3003E 04FB0F86
	v_max3_f32 v62, v136, v137, v62                            // 00000000D3F0: D1D3003E 04FB1388
	v_max3_f32 v62, v138, v139, v62                            // 00000000D3F8: D1D3003E 04FB178A
	v_max3_f32 v62, v140, v141, v62                            // 00000000D400: D1D3003E 04FB1B8C
	v_max3_f32 v62, v142, v143, v62                            // 00000000D408: D1D3003E 04FB1F8E
	ds_write_b32 v11, v62 offset:16896                         // 00000000D410: D81A4200 00003E0B
	buffer_load_dwordx4 a[56:59], v32, s[16:19], 0 offen       // 00000000D418: E05C1000 80843820
	v_mul_u32_u24_dpp v41, v20, v68 row_newbcast:1 row_mask:0xf bank_mask:0xf// 00000000D420: 105288FA FF015114
	v_mul_u32_u24_dpp v42, v20, v68 row_newbcast:5 row_mask:0xf bank_mask:0xf// 00000000D428: 105488FA FF015514
	v_mul_u32_u24_dpp v43, v20, v68 row_newbcast:9 row_mask:0xf bank_mask:0xf// 00000000D430: 105688FA FF015914
	v_mul_u32_u24_dpp v44, v20, v68 row_newbcast:13 row_mask:0xf bank_mask:0xf// 00000000D438: 105888FA FF015D14
	v_add_u32_e32 v37, v41, v7                                 // 00000000D440: 684A0F29
	v_add_u32_e32 v38, v42, v7                                 // 00000000D444: 684C0F2A
	v_add_u32_e32 v39, v43, v7                                 // 00000000D448: 684E0F2B
	v_add_u32_e32 v40, v44, v7                                 // 00000000D44C: 68500F2C
	v_mul_f32_e32 v224, v63, v224                              // 00000000D450: 0BC1C13F
	v_mul_f32_e32 v225, v63, v225                              // 00000000D454: 0BC3C33F
	v_mul_f32_e32 v226, v63, v226                              // 00000000D458: 0BC5C53F
	v_mul_f32_e32 v227, v63, v227                              // 00000000D45C: 0BC7C73F
	v_mul_f32_e32 v228, v63, v228                              // 00000000D460: 0BC9C93F
	v_mul_f32_e32 v229, v63, v229                              // 00000000D464: 0BCBCB3F
	v_mul_f32_e32 v230, v63, v230                              // 00000000D468: 0BCDCD3F
	v_mul_f32_e32 v231, v63, v231                              // 00000000D46C: 0BCFCF3F
	s_waitcnt lgkmcnt(0)                                       // 00000000D470: BF8CC07F
	s_barrier                                                  // 00000000D474: BF8A0000
	ds_read_b32 v80, v10 offset:16896                          // 00000000D478: D86C4200 5000000A
	ds_read_b32 v81, v10 offset:16960                          // 00000000D480: D86C4240 5100000A
	ds_read_b32 v82, v10 offset:17024                          // 00000000D488: D86C4280 5200000A
	ds_read_b32 v83, v10 offset:17088                          // 00000000D490: D86C42C0 5300000A
	ds_read_b32 v84, v10 offset:17152                          // 00000000D498: D86C4300 5400000A
	ds_read_b32 v85, v10 offset:17216                          // 00000000D4A0: D86C4340 5500000A
	ds_read_b32 v86, v10 offset:17280                          // 00000000D4A8: D86C4380 5600000A
	ds_read_b32 v87, v10 offset:17344                          // 00000000D4B0: D86C43C0 5700000A
	ds_read_b32 v88, v10 offset:17408                          // 00000000D4B8: D86C4400 5800000A
	ds_read_b32 v89, v10 offset:17472                          // 00000000D4C0: D86C4440 5900000A
	ds_read_b32 v90, v10 offset:17536                          // 00000000D4C8: D86C4480 5A00000A
	ds_read_b32 v91, v10 offset:17600                          // 00000000D4D0: D86C44C0 5B00000A
	ds_read_b32 v92, v10 offset:17664                          // 00000000D4D8: D86C4500 5C00000A
	ds_read_b32 v93, v10 offset:17728                          // 00000000D4E0: D86C4540 5D00000A
	ds_read_b32 v94, v10 offset:17792                          // 00000000D4E8: D86C4580 5E00000A
	ds_read_b32 v95, v10 offset:17856                          // 00000000D4F0: D86C45C0 5F00000A
	buffer_load_dwordx4 a[60:63], v32, s[16:19], 0 offen offset:1024// 00000000D4F8: E05C1400 80843C20
	v_cvt_f32_i32_e32 v192, v192                               // 00000000D500: 7F800BC0
	v_cvt_f32_i32_e32 v193, v193                               // 00000000D504: 7F820BC1
	v_cvt_f32_i32_e32 v194, v194                               // 00000000D508: 7F840BC2
	v_cvt_f32_i32_e32 v195, v195                               // 00000000D50C: 7F860BC3
	v_cvt_f32_i32_e32 v196, v196                               // 00000000D510: 7F880BC4
	v_cvt_f32_i32_e32 v197, v197                               // 00000000D514: 7F8A0BC5
	v_cvt_f32_i32_e32 v198, v198                               // 00000000D518: 7F8C0BC6
	v_cvt_f32_i32_e32 v199, v199                               // 00000000D51C: 7F8E0BC7
	v_mul_f32_e32 v192, v58, v192                              // 00000000D520: 0B81813A
	v_mul_f32_e32 v193, v58, v193                              // 00000000D524: 0B83833A
	v_mul_f32_e32 v194, v58, v194                              // 00000000D528: 0B85853A
	v_mul_f32_e32 v195, v58, v195                              // 00000000D52C: 0B87873A
	v_mul_f32_e32 v196, v58, v196                              // 00000000D530: 0B89893A
	v_mul_f32_e32 v197, v58, v197                              // 00000000D534: 0B8B8B3A
	v_mul_f32_e32 v198, v58, v198                              // 00000000D538: 0B8D8D3A
	v_mul_f32_e32 v199, v58, v199                              // 00000000D53C: 0B8F8F3A
	s_waitcnt lgkmcnt(0)                                       // 00000000D540: BF8CC07F
	v_max3_f32 v62, v80, v81, v62                              // 00000000D544: D1D3003E 04FAA350
	v_max3_f32 v62, v82, v83, v62                              // 00000000D54C: D1D3003E 04FAA752
	v_max3_f32 v62, v84, v85, v62                              // 00000000D554: D1D3003E 04FAAB54
	v_max3_f32 v62, v86, v87, v62                              // 00000000D55C: D1D3003E 04FAAF56
	v_max3_f32 v62, v88, v89, v62                              // 00000000D564: D1D3003E 04FAB358
	v_max3_f32 v62, v90, v91, v62                              // 00000000D56C: D1D3003E 04FAB75A
	v_max3_f32 v62, v92, v93, v62                              // 00000000D574: D1D3003E 04FABB5C
	v_max3_f32 v62, v94, v95, v62                              // 00000000D57C: D1D3003E 04FABF5E
	buffer_load_dwordx4 a[96:99], v37, s[20:23], 0 offen       // 00000000D584: E05C1000 80856025
	v_mov_b32_e32 v41, 0xff800000                              // 00000000D58C: 7E5202FF FF800000
	v_cmp_eq_u32_e64 s[40:41], v41, v14                        // 00000000D594: D0CA0028 00021D29
	s_nop 1                                                    // 00000000D59C: BF800001
	v_max_f32_e32 v18, v62, v14                                // 00000000D5A0: 16241D3E
	v_mul_f32_e32 v67, s64, v18                                // 00000000D5A4: 0A862440
	v_fma_f32 v128, v128, s64, -v67                            // 00000000D5A8: D1CB0080 850C8180
	v_fma_f32 v129, v129, s64, -v67                            // 00000000D5B0: D1CB0081 850C8181
	v_fma_f32 v130, v130, s64, -v67                            // 00000000D5B8: D1CB0082 850C8182
	v_fma_f32 v131, v131, s64, -v67                            // 00000000D5C0: D1CB0083 850C8183
	v_fma_f32 v132, v132, s64, -v67                            // 00000000D5C8: D1CB0084 850C8184
	v_fma_f32 v133, v133, s64, -v67                            // 00000000D5D0: D1CB0085 850C8185
	v_fma_f32 v134, v134, s64, -v67                            // 00000000D5D8: D1CB0086 850C8186
	v_fma_f32 v135, v135, s64, -v67                            // 00000000D5E0: D1CB0087 850C8187
	v_fma_f32 v136, v136, s64, -v67                            // 00000000D5E8: D1CB0088 850C8188
	v_fma_f32 v137, v137, s64, -v67                            // 00000000D5F0: D1CB0089 850C8189
	v_fma_f32 v138, v138, s64, -v67                            // 00000000D5F8: D1CB008A 850C818A
	v_fma_f32 v139, v139, s64, -v67                            // 00000000D600: D1CB008B 850C818B
	v_fma_f32 v140, v140, s64, -v67                            // 00000000D608: D1CB008C 850C818C
	v_fma_f32 v141, v141, s64, -v67                            // 00000000D610: D1CB008D 850C818D
	v_fma_f32 v142, v142, s64, -v67                            // 00000000D618: D1CB008E 850C818E
	v_fma_f32 v143, v143, s64, -v67                            // 00000000D620: D1CB008F 850C818F
	buffer_load_dwordx4 a[100:103], v38, s[20:23], 0 offen     // 00000000D628: E05C1000 80856426
	v_exp_f32_e32 v128, v128                                   // 00000000D630: 7F004180
	v_exp_f32_e32 v129, v129                                   // 00000000D634: 7F024181
	v_exp_f32_e32 v130, v130                                   // 00000000D638: 7F044182
	v_exp_f32_e32 v131, v131                                   // 00000000D63C: 7F064183
	v_exp_f32_e32 v132, v132                                   // 00000000D640: 7F084184
	v_exp_f32_e32 v133, v133                                   // 00000000D644: 7F0A4185
	v_exp_f32_e32 v134, v134                                   // 00000000D648: 7F0C4186
	v_exp_f32_e32 v135, v135                                   // 00000000D64C: 7F0E4187
	v_exp_f32_e32 v136, v136                                   // 00000000D650: 7F104188
	v_exp_f32_e32 v137, v137                                   // 00000000D654: 7F124189
	v_exp_f32_e32 v138, v138                                   // 00000000D658: 7F14418A
	v_exp_f32_e32 v139, v139                                   // 00000000D65C: 7F16418B
	v_exp_f32_e32 v140, v140                                   // 00000000D660: 7F18418C
	v_exp_f32_e32 v141, v141                                   // 00000000D664: 7F1A418D
	v_exp_f32_e32 v142, v142                                   // 00000000D668: 7F1C418E
	v_exp_f32_e32 v143, v143                                   // 00000000D66C: 7F1E418F
	buffer_load_dwordx4 a[104:107], v39, s[20:23], 0 offen     // 00000000D670: E05C1000 80856827
	v_mul_f32_dpp v240, v252, v128 quad_perm:[0,0,0,0] row_mask:0xf bank_mask:0xf// 00000000D678: 0BE100FA FF0000FC
	v_mul_f32_dpp v241, v252, v129 quad_perm:[1,1,1,1] row_mask:0xf bank_mask:0xf// 00000000D680: 0BE302FA FF0055FC
	v_mul_f32_dpp v242, v252, v130 quad_perm:[2,2,2,2] row_mask:0xf bank_mask:0xf// 00000000D688: 0BE504FA FF00AAFC
	v_mul_f32_dpp v243, v252, v131 quad_perm:[3,3,3,3] row_mask:0xf bank_mask:0xf// 00000000D690: 0BE706FA FF00FFFC
	v_mul_f32_dpp v244, v253, v132 quad_perm:[0,0,0,0] row_mask:0xf bank_mask:0xf// 00000000D698: 0BE908FA FF0000FD
	v_mul_f32_dpp v245, v253, v133 quad_perm:[1,1,1,1] row_mask:0xf bank_mask:0xf// 00000000D6A0: 0BEB0AFA FF0055FD
	v_mul_f32_dpp v246, v253, v134 quad_perm:[2,2,2,2] row_mask:0xf bank_mask:0xf// 00000000D6A8: 0BED0CFA FF00AAFD
	v_mul_f32_dpp v247, v253, v135 quad_perm:[3,3,3,3] row_mask:0xf bank_mask:0xf// 00000000D6B0: 0BEF0EFA FF00FFFD
	v_mul_f32_dpp v248, v254, v136 quad_perm:[0,0,0,0] row_mask:0xf bank_mask:0xf// 00000000D6B8: 0BF110FA FF0000FE
	v_mul_f32_dpp v249, v254, v137 quad_perm:[1,1,1,1] row_mask:0xf bank_mask:0xf// 00000000D6C0: 0BF312FA FF0055FE
	v_mul_f32_dpp v250, v254, v138 quad_perm:[2,2,2,2] row_mask:0xf bank_mask:0xf// 00000000D6C8: 0BF514FA FF00AAFE
	v_mul_f32_dpp v251, v254, v139 quad_perm:[3,3,3,3] row_mask:0xf bank_mask:0xf// 00000000D6D0: 0BF716FA FF00FFFE
	v_mul_f32_dpp v252, v255, v140 quad_perm:[0,0,0,0] row_mask:0xf bank_mask:0xf// 00000000D6D8: 0BF918FA FF0000FF
	v_mul_f32_dpp v253, v255, v141 quad_perm:[1,1,1,1] row_mask:0xf bank_mask:0xf// 00000000D6E0: 0BFB1AFA FF0055FF
	v_mul_f32_dpp v254, v255, v142 quad_perm:[2,2,2,2] row_mask:0xf bank_mask:0xf// 00000000D6E8: 0BFD1CFA FF00AAFF
	v_mul_f32_dpp v255, v255, v143 quad_perm:[3,3,3,3] row_mask:0xf bank_mask:0xf// 00000000D6F0: 0BFF1EFA FF00FFFF
	v_mov_b32_e32 v62, 0x358637bd                              // 00000000D6F8: 7E7C02FF 358637BD
	v_max3_f32 v62, |v240|, |v241|, v62                        // 00000000D700: D1D3033E 04FBE3F0
	v_max3_f32 v62, |v242|, |v243|, v62                        // 00000000D708: D1D3033E 04FBE7F2
	v_max3_f32 v62, |v244|, |v245|, v62                        // 00000000D710: D1D3033E 04FBEBF4
	v_max3_f32 v62, |v246|, |v247|, v62                        // 00000000D718: D1D3033E 04FBEFF6
	v_max3_f32 v62, |v248|, |v249|, v62                        // 00000000D720: D1D3033E 04FBF3F8
	v_max3_f32 v62, |v250|, |v251|, v62                        // 00000000D728: D1D3033E 04FBF7FA
	v_max3_f32 v62, |v252|, |v253|, v62                        // 00000000D730: D1D3033E 04FBFBFC
	v_max3_f32 v62, |v254|, |v255|, v62                        // 00000000D738: D1D3033E 04FBFFFE
	buffer_load_dwordx4 a[108:111], v40, s[20:23], 0 offen     // 00000000D740: E05C1000 80856C28
	ds_write_b32 v11, v62 offset:20992                         // 00000000D748: D81A5200 00003E0B
	v_sub_f32_e32 v63, v14, v18                                // 00000000D750: 047E250E
	v_cndmask_b32_e64 v63, v63, 0, s[40:41]                    // 00000000D754: D100003F 00A1013F
	v_mov_b32_e32 v14, v18                                     // 00000000D75C: 7E1C0312
	v_mul_f32_e32 v63, s64, v63                                // 00000000D760: 0A7E7E40
	v_exp_f32_e32 v63, v63                                     // 00000000D764: 7E7E413F
	s_waitcnt lgkmcnt(0)                                       // 00000000D768: BF8CC07F
	s_barrier                                                  // 00000000D76C: BF8A0000
	ds_read_b32 v80, v10 offset:20992                          // 00000000D770: D86C5200 5000000A
	ds_read_b32 v81, v10 offset:21056                          // 00000000D778: D86C5240 5100000A
	ds_read_b32 v82, v10 offset:21120                          // 00000000D780: D86C5280 5200000A
	ds_read_b32 v83, v10 offset:21184                          // 00000000D788: D86C52C0 5300000A
	ds_read_b32 v84, v10 offset:21248                          // 00000000D790: D86C5300 5400000A
	ds_read_b32 v85, v10 offset:21312                          // 00000000D798: D86C5340 5500000A
	ds_read_b32 v86, v10 offset:21376                          // 00000000D7A0: D86C5380 5600000A
	ds_read_b32 v87, v10 offset:21440                          // 00000000D7A8: D86C53C0 5700000A
	ds_read_b32 v88, v10 offset:21504                          // 00000000D7B0: D86C5400 5800000A
	ds_read_b32 v89, v10 offset:21568                          // 00000000D7B8: D86C5440 5900000A
	ds_read_b32 v90, v10 offset:21632                          // 00000000D7C0: D86C5480 5A00000A
	ds_read_b32 v91, v10 offset:21696                          // 00000000D7C8: D86C54C0 5B00000A
	ds_read_b32 v92, v10 offset:21760                          // 00000000D7D0: D86C5500 5C00000A
	ds_read_b32 v93, v10 offset:21824                          // 00000000D7D8: D86C5540 5D00000A
	ds_read_b32 v94, v10 offset:21888                          // 00000000D7E0: D86C5580 5E00000A
	ds_read_b32 v95, v10 offset:21952                          // 00000000D7E8: D86C55C0 5F00000A
	v_mul_f32_e32 v47, v63, v47                                // 00000000D7F0: 0A5E5F3F
	v_mov_b32_e32 v18, v128                                    // 00000000D7F4: 7E240380
	v_add_f32_e32 v18, v129, v18                               // 00000000D7F8: 02242581
	v_add_f32_e32 v18, v130, v18                               // 00000000D7FC: 02242582
	v_add_f32_e32 v18, v131, v18                               // 00000000D800: 02242583
	v_add_f32_e32 v18, v132, v18                               // 00000000D804: 02242584
	v_add_f32_e32 v18, v133, v18                               // 00000000D808: 02242585
	v_add_f32_e32 v18, v134, v18                               // 00000000D80C: 02242586
	v_add_f32_e32 v18, v135, v18                               // 00000000D810: 02242587
	v_add_f32_e32 v18, v136, v18                               // 00000000D814: 02242588
	v_add_f32_e32 v18, v137, v18                               // 00000000D818: 02242589
	v_add_f32_e32 v18, v138, v18                               // 00000000D81C: 0224258A
	v_add_f32_e32 v18, v139, v18                               // 00000000D820: 0224258B
	v_add_f32_e32 v18, v140, v18                               // 00000000D824: 0224258C
	v_add_f32_e32 v18, v141, v18                               // 00000000D828: 0224258D
	v_add_f32_e32 v18, v142, v18                               // 00000000D82C: 0224258E
	v_add_f32_e32 v18, v143, v18                               // 00000000D830: 0224258F
	v_add_f32_e32 v47, v18, v47                                // 00000000D834: 025E5F12
	s_waitcnt lgkmcnt(0)                                       // 00000000D838: BF8CC07F
	v_max3_f32 v62, |v80|, |v81|, v62                          // 00000000D83C: D1D3033E 04FAA350
	v_max3_f32 v62, |v82|, |v83|, v62                          // 00000000D844: D1D3033E 04FAA752
	v_max3_f32 v62, |v84|, |v85|, v62                          // 00000000D84C: D1D3033E 04FAAB54
	v_max3_f32 v62, |v86|, |v87|, v62                          // 00000000D854: D1D3033E 04FAAF56
	v_max3_f32 v62, |v88|, |v89|, v62                          // 00000000D85C: D1D3033E 04FAB358
	v_max3_f32 v62, |v90|, |v91|, v62                          // 00000000D864: D1D3033E 04FAB75A
	v_max3_f32 v62, |v92|, |v93|, v62                          // 00000000D86C: D1D3033E 04FABB5C
	v_max3_f32 v62, |v94|, |v95|, v62                          // 00000000D874: D1D3033E 04FABF5E
	s_nop 2                                                    // 00000000D87C: BF800002
	v_rcp_f32_e32 v62, v62                                     // 00000000D880: 7E7C453E
	s_nop 1                                                    // 00000000D884: BF800001
	v_mul_f32_e32 v62, 0x42fe0000, v62                         // 00000000D888: 0A7C7CFF 42FE0000
	v_mul_f32_e32 v128, v62, v240                              // 00000000D890: 0B01E13E
	v_mul_f32_e32 v129, v62, v241                              // 00000000D894: 0B03E33E
	v_mul_f32_e32 v130, v62, v242                              // 00000000D898: 0B05E53E
	v_mul_f32_e32 v131, v62, v243                              // 00000000D89C: 0B07E73E
	v_mul_f32_e32 v132, v62, v244                              // 00000000D8A0: 0B09E93E
	v_mul_f32_e32 v133, v62, v245                              // 00000000D8A4: 0B0BEB3E
	v_mul_f32_e32 v134, v62, v246                              // 00000000D8A8: 0B0DED3E
	v_mul_f32_e32 v135, v62, v247                              // 00000000D8AC: 0B0FEF3E
	v_mul_f32_e32 v136, v62, v248                              // 00000000D8B0: 0B11F13E
	v_mul_f32_e32 v137, v62, v249                              // 00000000D8B4: 0B13F33E
	v_mul_f32_e32 v138, v62, v250                              // 00000000D8B8: 0B15F53E
	v_mul_f32_e32 v139, v62, v251                              // 00000000D8BC: 0B17F73E
	v_mul_f32_e32 v140, v62, v252                              // 00000000D8C0: 0B19F93E
	v_mul_f32_e32 v141, v62, v253                              // 00000000D8C4: 0B1BFB3E
	v_mul_f32_e32 v142, v62, v254                              // 00000000D8C8: 0B1DFD3E
	v_mul_f32_e32 v143, v62, v255                              // 00000000D8CC: 0B1FFF3E
	v_cvt_i32_f32_e32 v128, v128                               // 00000000D8D0: 7F001180
	v_cvt_i32_f32_e32 v129, v129                               // 00000000D8D4: 7F021181
	v_cvt_i32_f32_e32 v130, v130                               // 00000000D8D8: 7F041182
	v_cvt_i32_f32_e32 v131, v131                               // 00000000D8DC: 7F061183
	v_cvt_i32_f32_e32 v132, v132                               // 00000000D8E0: 7F081184
	v_cvt_i32_f32_e32 v133, v133                               // 00000000D8E4: 7F0A1185
	v_cvt_i32_f32_e32 v134, v134                               // 00000000D8E8: 7F0C1186
	v_cvt_i32_f32_e32 v135, v135                               // 00000000D8EC: 7F0E1187
	v_cvt_i32_f32_e32 v136, v136                               // 00000000D8F0: 7F101188
	v_cvt_i32_f32_e32 v137, v137                               // 00000000D8F4: 7F121189
	v_cvt_i32_f32_e32 v138, v138                               // 00000000D8F8: 7F14118A
	v_cvt_i32_f32_e32 v139, v139                               // 00000000D8FC: 7F16118B
	v_cvt_i32_f32_e32 v140, v140                               // 00000000D900: 7F18118C
	v_cvt_i32_f32_e32 v141, v141                               // 00000000D904: 7F1A118D
	v_cvt_i32_f32_e32 v142, v142                               // 00000000D908: 7F1C118E
	v_cvt_i32_f32_e32 v143, v143                               // 00000000D90C: 7F1E118F
	v_perm_b32 v128, v129, v128, s53                           // 00000000D910: D1ED0080 00D70181
	v_perm_b32 v128, v130, v128, s54                           // 00000000D918: D1ED0080 00DB0182
	v_perm_b32 v128, v131, v128, s55                           // 00000000D920: D1ED0080 00DF0183
	v_perm_b32 v129, v133, v132, s53                           // 00000000D928: D1ED0081 00D70985
	v_perm_b32 v129, v134, v129, s54                           // 00000000D930: D1ED0081 00DB0386
	v_perm_b32 v129, v135, v129, s55                           // 00000000D938: D1ED0081 00DF0387
	v_perm_b32 v130, v137, v136, s53                           // 00000000D940: D1ED0082 00D71189
	v_perm_b32 v130, v138, v130, s54                           // 00000000D948: D1ED0082 00DB058A
	v_perm_b32 v130, v139, v130, s55                           // 00000000D950: D1ED0082 00DF058B
	v_perm_b32 v131, v141, v140, s53                           // 00000000D958: D1ED0083 00D7198D
	v_perm_b32 v131, v142, v131, s54                           // 00000000D960: D1ED0083 00DB078E
	v_perm_b32 v131, v143, v131, s55                           // 00000000D968: D1ED0083 00DF078F
	ds_write_b32 v13, v128 offset:25088                        // 00000000D970: D81A6200 0000800D
	ds_write_b32 v13, v129 offset:26112                        // 00000000D978: D81A6600 0000810D
	ds_write_b32 v13, v130 offset:27136                        // 00000000D980: D81A6A00 0000820D
	ds_write_b32 v13, v131 offset:28160                        // 00000000D988: D81A6E00 0000830D
	v_add_f32_e32 v224, v224, v192                             // 00000000D990: 03C181E0
	v_add_f32_e32 v225, v225, v193                             // 00000000D994: 03C383E1
	v_add_f32_e32 v226, v226, v194                             // 00000000D998: 03C585E2
	v_add_f32_e32 v227, v227, v195                             // 00000000D99C: 03C787E3
	v_add_f32_e32 v228, v228, v196                             // 00000000D9A0: 03C989E4
	v_add_f32_e32 v229, v229, v197                             // 00000000D9A4: 03CB8BE5
	v_add_f32_e32 v230, v230, v198                             // 00000000D9A8: 03CD8DE6
	v_add_f32_e32 v231, v231, v199                             // 00000000D9AC: 03CF8FE7
	v_rcp_f32_e32 v58, v62                                     // 00000000D9B0: 7E74453E
	s_waitcnt lgkmcnt(0)                                       // 00000000D9B4: BF8CC07F
	s_barrier                                                  // 00000000D9B8: BF8A0000
	ds_read_b64 v[128:129], v12 offset:25088                   // 00000000D9BC: D8EC6200 8000000C
	ds_read_b64 v[130:131], v12 offset:25216                   // 00000000D9C4: D8EC6280 8200000C
	ds_read_b64 v[132:133], v12 offset:26112                   // 00000000D9CC: D8EC6600 8400000C
	ds_read_b64 v[134:135], v12 offset:26240                   // 00000000D9D4: D8EC6680 8600000C
	ds_read_b64 v[136:137], v12 offset:27136                   // 00000000D9DC: D8EC6A00 8800000C
	ds_read_b64 v[138:139], v12 offset:27264                   // 00000000D9E4: D8EC6A80 8A00000C
	ds_read_b64 v[140:141], v12 offset:28160                   // 00000000D9EC: D8EC6E00 8C00000C
	ds_read_b64 v[142:143], v12 offset:28288                   // 00000000D9F4: D8EC6E80 8E00000C
	v_mov_b32_dpp v41, v52 row_shr:4 row_mask:0xf bank_mask:0xf// 00000000D9FC: 7E5202FA FF011434
	v_mov_b32_dpp v42, v52 row_shl:4 row_mask:0xf bank_mask:0xf// 00000000DA04: 7E5402FA FF010434
	v_cndmask_b32_e64 v248, v52, v41, s[44:45]                 // 00000000DA0C: D10000F8 00B25334
	v_cndmask_b32_e64 v249, v42, v52, s[44:45]                 // 00000000DA14: D10000F9 00B2692A
	v_mov_b32_dpp v41, v248 row_shr:8 row_mask:0xf bank_mask:0xf// 00000000DA1C: 7E5202FA FF0118F8
	v_mov_b32_dpp v42, v248 row_shl:8 row_mask:0xf bank_mask:0xf// 00000000DA24: 7E5402FA FF0108F8
	v_mov_b32_dpp v43, v249 row_shr:8 row_mask:0xf bank_mask:0xf// 00000000DA2C: 7E5602FA FF0118F9
	v_mov_b32_dpp v44, v249 row_shl:8 row_mask:0xf bank_mask:0xf// 00000000DA34: 7E5802FA FF0108F9
	v_mov_b32_e32 v45, v248                                    // 00000000DA3C: 7E5A03F8
	v_mov_b32_e32 v46, v249                                    // 00000000DA40: 7E5C03F9
	v_cndmask_b32_e64 v248, v45, v41, s[42:43]                 // 00000000DA44: D10000F8 00AA532D
	v_cndmask_b32_e64 v250, v45, v42, s[78:79]                 // 00000000DA4C: D10000FA 013A552D
	v_cndmask_b32_e64 v249, v46, v43, s[42:43]                 // 00000000DA54: D10000F9 00AA572E
	v_cndmask_b32_e64 v251, v46, v44, s[78:79]                 // 00000000DA5C: D10000FB 013A592E
	v_mov_b32_dpp v41, v72 row_shr:4 row_mask:0xf bank_mask:0xf// 00000000DA64: 7E5202FA FF011448
	v_mov_b32_dpp v42, v72 row_shl:4 row_mask:0xf bank_mask:0xf// 00000000DA6C: 7E5402FA FF010448
	v_cndmask_b32_e64 v252, v72, v41, s[44:45]                 // 00000000DA74: D10000FC 00B25348
	v_cndmask_b32_e64 v253, v42, v72, s[44:45]                 // 00000000DA7C: D10000FD 00B2912A
	v_mov_b32_dpp v41, v252 row_shr:8 row_mask:0xf bank_mask:0xf// 00000000DA84: 7E5202FA FF0118FC
	v_mov_b32_dpp v42, v252 row_shl:8 row_mask:0xf bank_mask:0xf// 00000000DA8C: 7E5402FA FF0108FC
	v_mov_b32_dpp v43, v253 row_shr:8 row_mask:0xf bank_mask:0xf// 00000000DA94: 7E5602FA FF0118FD
	v_mov_b32_dpp v44, v253 row_shl:8 row_mask:0xf bank_mask:0xf// 00000000DA9C: 7E5802FA FF0108FD
	v_mov_b32_e32 v45, v252                                    // 00000000DAA4: 7E5A03FC
	v_mov_b32_e32 v46, v253                                    // 00000000DAA8: 7E5C03FD
	v_cndmask_b32_e64 v252, v45, v41, s[42:43]                 // 00000000DAAC: D10000FC 00AA532D
	v_cndmask_b32_e64 v254, v45, v42, s[78:79]                 // 00000000DAB4: D10000FE 013A552D
	v_cndmask_b32_e64 v253, v46, v43, s[42:43]                 // 00000000DABC: D10000FD 00AA572E
	v_cndmask_b32_e64 v255, v46, v44, s[78:79]                 // 00000000DAC4: D10000FF 013A592E
	v_cvt_f32_i32_e32 v144, v144                               // 00000000DACC: 7F200B90
	v_cvt_f32_i32_e32 v145, v145                               // 00000000DAD0: 7F220B91
	v_cvt_f32_i32_e32 v146, v146                               // 00000000DAD4: 7F240B92
	v_cvt_f32_i32_e32 v147, v147                               // 00000000DAD8: 7F260B93
	v_cvt_f32_i32_e32 v148, v148                               // 00000000DADC: 7F280B94
	v_cvt_f32_i32_e32 v149, v149                               // 00000000DAE0: 7F2A0B95
	v_cvt_f32_i32_e32 v150, v150                               // 00000000DAE4: 7F2C0B96
	v_cvt_f32_i32_e32 v151, v151                               // 00000000DAE8: 7F2E0B97
	v_cvt_f32_i32_e32 v152, v152                               // 00000000DAEC: 7F300B98
	v_cvt_f32_i32_e32 v153, v153                               // 00000000DAF0: 7F320B99
	v_cvt_f32_i32_e32 v154, v154                               // 00000000DAF4: 7F340B9A
	v_cvt_f32_i32_e32 v155, v155                               // 00000000DAF8: 7F360B9B
	v_cvt_f32_i32_e32 v156, v156                               // 00000000DAFC: 7F380B9C
	v_cvt_f32_i32_e32 v157, v157                               // 00000000DB00: 7F3A0B9D
	v_cvt_f32_i32_e32 v158, v158                               // 00000000DB04: 7F3C0B9E
	v_cvt_f32_i32_e32 v159, v159                               // 00000000DB08: 7F3E0B9F
	v_mul_f32_e32 v144, v55, v144                              // 00000000DB0C: 0B212137
	v_mul_f32_e32 v145, v55, v145                              // 00000000DB10: 0B232337
	v_mul_f32_e32 v146, v55, v146                              // 00000000DB14: 0B252537
	v_mul_f32_e32 v147, v55, v147                              // 00000000DB18: 0B272737
	v_mul_f32_e32 v148, v55, v148                              // 00000000DB1C: 0B292937
	v_mul_f32_e32 v149, v55, v149                              // 00000000DB20: 0B2B2B37
	v_mul_f32_e32 v150, v55, v150                              // 00000000DB24: 0B2D2D37
	v_mul_f32_e32 v151, v55, v151                              // 00000000DB28: 0B2F2F37
	v_mul_f32_e32 v152, v55, v152                              // 00000000DB2C: 0B313137
	v_mul_f32_e32 v153, v55, v153                              // 00000000DB30: 0B333337
	v_mul_f32_e32 v154, v55, v154                              // 00000000DB34: 0B353537
	v_mul_f32_e32 v155, v55, v155                              // 00000000DB38: 0B373737
	v_mul_f32_e32 v156, v55, v156                              // 00000000DB3C: 0B393937
	v_mul_f32_e32 v157, v55, v157                              // 00000000DB40: 0B3B3B37
	v_mul_f32_e32 v158, v55, v158                              // 00000000DB44: 0B3D3D37
	v_mul_f32_e32 v159, v55, v159                              // 00000000DB48: 0B3F3F37
	v_mul_f32_dpp v144, v248, v144 quad_perm:[0,0,0,0] row_mask:0xf bank_mask:0xf// 00000000DB4C: 0B2120FA FF0000F8
	v_mul_f32_dpp v145, v248, v145 quad_perm:[1,1,1,1] row_mask:0xf bank_mask:0xf// 00000000DB54: 0B2322FA FF0055F8
	v_mul_f32_dpp v146, v248, v146 quad_perm:[2,2,2,2] row_mask:0xf bank_mask:0xf// 00000000DB5C: 0B2524FA FF00AAF8
	v_mul_f32_dpp v147, v248, v147 quad_perm:[3,3,3,3] row_mask:0xf bank_mask:0xf// 00000000DB64: 0B2726FA FF00FFF8
	v_mul_f32_dpp v148, v249, v148 quad_perm:[0,0,0,0] row_mask:0xf bank_mask:0xf// 00000000DB6C: 0B2928FA FF0000F9
	v_mul_f32_dpp v149, v249, v149 quad_perm:[1,1,1,1] row_mask:0xf bank_mask:0xf// 00000000DB74: 0B2B2AFA FF0055F9
	v_mul_f32_dpp v150, v249, v150 quad_perm:[2,2,2,2] row_mask:0xf bank_mask:0xf// 00000000DB7C: 0B2D2CFA FF00AAF9
	v_mul_f32_dpp v151, v249, v151 quad_perm:[3,3,3,3] row_mask:0xf bank_mask:0xf// 00000000DB84: 0B2F2EFA FF00FFF9
	v_mul_f32_dpp v152, v250, v152 quad_perm:[0,0,0,0] row_mask:0xf bank_mask:0xf// 00000000DB8C: 0B3130FA FF0000FA
	v_mul_f32_dpp v153, v250, v153 quad_perm:[1,1,1,1] row_mask:0xf bank_mask:0xf// 00000000DB94: 0B3332FA FF0055FA
	v_mul_f32_dpp v154, v250, v154 quad_perm:[2,2,2,2] row_mask:0xf bank_mask:0xf// 00000000DB9C: 0B3534FA FF00AAFA
	v_mul_f32_dpp v155, v250, v155 quad_perm:[3,3,3,3] row_mask:0xf bank_mask:0xf// 00000000DBA4: 0B3736FA FF00FFFA
	v_mul_f32_dpp v156, v251, v156 quad_perm:[0,0,0,0] row_mask:0xf bank_mask:0xf// 00000000DBAC: 0B3938FA FF0000FB
	v_mul_f32_dpp v157, v251, v157 quad_perm:[1,1,1,1] row_mask:0xf bank_mask:0xf// 00000000DBB4: 0B3B3AFA FF0055FB
	v_mul_f32_dpp v158, v251, v158 quad_perm:[2,2,2,2] row_mask:0xf bank_mask:0xf// 00000000DBBC: 0B3D3CFA FF00AAFB
	v_mul_f32_dpp v159, v251, v159 quad_perm:[3,3,3,3] row_mask:0xf bank_mask:0xf// 00000000DBC4: 0B3F3EFA FF00FFFB
	v_mov_b32_e32 v62, v144                                    // 00000000DBCC: 7E7C0390
	v_max3_f32 v62, v144, v145, v62                            // 00000000DBD0: D1D3003E 04FB2390
	v_max3_f32 v62, v146, v147, v62                            // 00000000DBD8: D1D3003E 04FB2792
	v_max3_f32 v62, v148, v149, v62                            // 00000000DBE0: D1D3003E 04FB2B94
	v_max3_f32 v62, v150, v151, v62                            // 00000000DBE8: D1D3003E 04FB2F96
	v_max3_f32 v62, v152, v153, v62                            // 00000000DBF0: D1D3003E 04FB3398
	v_max3_f32 v62, v154, v155, v62                            // 00000000DBF8: D1D3003E 04FB379A
	v_max3_f32 v62, v156, v157, v62                            // 00000000DC00: D1D3003E 04FB3B9C
	v_max3_f32 v62, v158, v159, v62                            // 00000000DC08: D1D3003E 04FB3F9E
	ds_write_b32 v11, v62 offset:16896                         // 00000000DC10: D81A4200 00003E0B
	v_mul_f32_e32 v232, v64, v232                              // 00000000DC18: 0BD1D140
	v_mul_f32_e32 v233, v64, v233                              // 00000000DC1C: 0BD3D340
	v_mul_f32_e32 v234, v64, v234                              // 00000000DC20: 0BD5D540
	v_mul_f32_e32 v235, v64, v235                              // 00000000DC24: 0BD7D740
	v_mul_f32_e32 v236, v64, v236                              // 00000000DC28: 0BD9D940
	v_mul_f32_e32 v237, v64, v237                              // 00000000DC2C: 0BDBDB40
	v_mul_f32_e32 v238, v64, v238                              // 00000000DC30: 0BDDDD40
	v_mul_f32_e32 v239, v64, v239                              // 00000000DC34: 0BDFDF40
	s_waitcnt lgkmcnt(0)                                       // 00000000DC38: BF8CC07F
	s_barrier                                                  // 00000000DC3C: BF8A0000
	ds_read_b32 v80, v10 offset:16896                          // 00000000DC40: D86C4200 5000000A
	ds_read_b32 v81, v10 offset:16960                          // 00000000DC48: D86C4240 5100000A
	ds_read_b32 v82, v10 offset:17024                          // 00000000DC50: D86C4280 5200000A
	ds_read_b32 v83, v10 offset:17088                          // 00000000DC58: D86C42C0 5300000A
	ds_read_b32 v84, v10 offset:17152                          // 00000000DC60: D86C4300 5400000A
	ds_read_b32 v85, v10 offset:17216                          // 00000000DC68: D86C4340 5500000A
	ds_read_b32 v86, v10 offset:17280                          // 00000000DC70: D86C4380 5600000A
	ds_read_b32 v87, v10 offset:17344                          // 00000000DC78: D86C43C0 5700000A
	ds_read_b32 v88, v10 offset:17408                          // 00000000DC80: D86C4400 5800000A
	ds_read_b32 v89, v10 offset:17472                          // 00000000DC88: D86C4440 5900000A
	ds_read_b32 v90, v10 offset:17536                          // 00000000DC90: D86C4480 5A00000A
	ds_read_b32 v91, v10 offset:17600                          // 00000000DC98: D86C44C0 5B00000A
	ds_read_b32 v92, v10 offset:17664                          // 00000000DCA0: D86C4500 5C00000A
	ds_read_b32 v93, v10 offset:17728                          // 00000000DCA8: D86C4540 5D00000A
	ds_read_b32 v94, v10 offset:17792                          // 00000000DCB0: D86C4580 5E00000A
	ds_read_b32 v95, v10 offset:17856                          // 00000000DCB8: D86C45C0 5F00000A
	v_cvt_f32_i32_e32 v200, v200                               // 00000000DCC0: 7F900BC8
	v_cvt_f32_i32_e32 v201, v201                               // 00000000DCC4: 7F920BC9
	v_cvt_f32_i32_e32 v202, v202                               // 00000000DCC8: 7F940BCA
	v_cvt_f32_i32_e32 v203, v203                               // 00000000DCCC: 7F960BCB
	v_cvt_f32_i32_e32 v204, v204                               // 00000000DCD0: 7F980BCC
	v_cvt_f32_i32_e32 v205, v205                               // 00000000DCD4: 7F9A0BCD
	v_cvt_f32_i32_e32 v206, v206                               // 00000000DCD8: 7F9C0BCE
	v_cvt_f32_i32_e32 v207, v207                               // 00000000DCDC: 7F9E0BCF
	v_mul_f32_e32 v200, v59, v200                              // 00000000DCE0: 0B91913B
	v_mul_f32_e32 v201, v59, v201                              // 00000000DCE4: 0B93933B
	v_mul_f32_e32 v202, v59, v202                              // 00000000DCE8: 0B95953B
	v_mul_f32_e32 v203, v59, v203                              // 00000000DCEC: 0B97973B
	v_mul_f32_e32 v204, v59, v204                              // 00000000DCF0: 0B99993B
	v_mul_f32_e32 v205, v59, v205                              // 00000000DCF4: 0B9B9B3B
	v_mul_f32_e32 v206, v59, v206                              // 00000000DCF8: 0B9D9D3B
	v_mul_f32_e32 v207, v59, v207                              // 00000000DCFC: 0B9F9F3B
	s_waitcnt lgkmcnt(0)                                       // 00000000DD00: BF8CC07F
	v_max3_f32 v62, v80, v81, v62                              // 00000000DD04: D1D3003E 04FAA350
	v_max3_f32 v62, v82, v83, v62                              // 00000000DD0C: D1D3003E 04FAA752
	v_max3_f32 v62, v84, v85, v62                              // 00000000DD14: D1D3003E 04FAAB54
	v_max3_f32 v62, v86, v87, v62                              // 00000000DD1C: D1D3003E 04FAAF56
	v_max3_f32 v62, v88, v89, v62                              // 00000000DD24: D1D3003E 04FAB358
	v_max3_f32 v62, v90, v91, v62                              // 00000000DD2C: D1D3003E 04FAB75A
	v_max3_f32 v62, v92, v93, v62                              // 00000000DD34: D1D3003E 04FABB5C
	v_max3_f32 v62, v94, v95, v62                              // 00000000DD3C: D1D3003E 04FABF5E
	v_mov_b32_e32 v41, 0xff800000                              // 00000000DD44: 7E5202FF FF800000
	v_cmp_eq_u32_e64 s[40:41], v41, v15                        // 00000000DD4C: D0CA0028 00021F29
	s_nop 1                                                    // 00000000DD54: BF800001
	v_max_f32_e32 v18, v62, v15                                // 00000000DD58: 16241F3E
	v_mul_f32_e32 v67, s64, v18                                // 00000000DD5C: 0A862440
	v_fma_f32 v144, v144, s64, -v67                            // 00000000DD60: D1CB0090 850C8190
	v_fma_f32 v145, v145, s64, -v67                            // 00000000DD68: D1CB0091 850C8191
	v_fma_f32 v146, v146, s64, -v67                            // 00000000DD70: D1CB0092 850C8192
	v_fma_f32 v147, v147, s64, -v67                            // 00000000DD78: D1CB0093 850C8193
	v_fma_f32 v148, v148, s64, -v67                            // 00000000DD80: D1CB0094 850C8194
	v_fma_f32 v149, v149, s64, -v67                            // 00000000DD88: D1CB0095 850C8195
	v_fma_f32 v150, v150, s64, -v67                            // 00000000DD90: D1CB0096 850C8196
	v_fma_f32 v151, v151, s64, -v67                            // 00000000DD98: D1CB0097 850C8197
	v_fma_f32 v152, v152, s64, -v67                            // 00000000DDA0: D1CB0098 850C8198
	v_fma_f32 v153, v153, s64, -v67                            // 00000000DDA8: D1CB0099 850C8199
	v_fma_f32 v154, v154, s64, -v67                            // 00000000DDB0: D1CB009A 850C819A
	v_fma_f32 v155, v155, s64, -v67                            // 00000000DDB8: D1CB009B 850C819B
	v_fma_f32 v156, v156, s64, -v67                            // 00000000DDC0: D1CB009C 850C819C
	v_fma_f32 v157, v157, s64, -v67                            // 00000000DDC8: D1CB009D 850C819D
	v_fma_f32 v158, v158, s64, -v67                            // 00000000DDD0: D1CB009E 850C819E
	v_fma_f32 v159, v159, s64, -v67                            // 00000000DDD8: D1CB009F 850C819F
	v_exp_f32_e32 v144, v144                                   // 00000000DDE0: 7F204190
	v_exp_f32_e32 v145, v145                                   // 00000000DDE4: 7F224191
	v_exp_f32_e32 v146, v146                                   // 00000000DDE8: 7F244192
	v_exp_f32_e32 v147, v147                                   // 00000000DDEC: 7F264193
	v_exp_f32_e32 v148, v148                                   // 00000000DDF0: 7F284194
	v_exp_f32_e32 v149, v149                                   // 00000000DDF4: 7F2A4195
	v_exp_f32_e32 v150, v150                                   // 00000000DDF8: 7F2C4196
	v_exp_f32_e32 v151, v151                                   // 00000000DDFC: 7F2E4197
	v_exp_f32_e32 v152, v152                                   // 00000000DE00: 7F304198
	v_exp_f32_e32 v153, v153                                   // 00000000DE04: 7F324199
	v_exp_f32_e32 v154, v154                                   // 00000000DE08: 7F34419A
	v_exp_f32_e32 v155, v155                                   // 00000000DE0C: 7F36419B
	v_exp_f32_e32 v156, v156                                   // 00000000DE10: 7F38419C
	v_exp_f32_e32 v157, v157                                   // 00000000DE14: 7F3A419D
	v_exp_f32_e32 v158, v158                                   // 00000000DE18: 7F3C419E
	v_exp_f32_e32 v159, v159                                   // 00000000DE1C: 7F3E419F
	v_mul_f32_dpp v240, v252, v144 quad_perm:[0,0,0,0] row_mask:0xf bank_mask:0xf// 00000000DE20: 0BE120FA FF0000FC
	v_mul_f32_dpp v241, v252, v145 quad_perm:[1,1,1,1] row_mask:0xf bank_mask:0xf// 00000000DE28: 0BE322FA FF0055FC
	v_mul_f32_dpp v242, v252, v146 quad_perm:[2,2,2,2] row_mask:0xf bank_mask:0xf// 00000000DE30: 0BE524FA FF00AAFC
	v_mul_f32_dpp v243, v252, v147 quad_perm:[3,3,3,3] row_mask:0xf bank_mask:0xf// 00000000DE38: 0BE726FA FF00FFFC
	v_mul_f32_dpp v244, v253, v148 quad_perm:[0,0,0,0] row_mask:0xf bank_mask:0xf// 00000000DE40: 0BE928FA FF0000FD
	v_mul_f32_dpp v245, v253, v149 quad_perm:[1,1,1,1] row_mask:0xf bank_mask:0xf// 00000000DE48: 0BEB2AFA FF0055FD
	v_mul_f32_dpp v246, v253, v150 quad_perm:[2,2,2,2] row_mask:0xf bank_mask:0xf// 00000000DE50: 0BED2CFA FF00AAFD
	v_mul_f32_dpp v247, v253, v151 quad_perm:[3,3,3,3] row_mask:0xf bank_mask:0xf// 00000000DE58: 0BEF2EFA FF00FFFD
	v_mul_f32_dpp v248, v254, v152 quad_perm:[0,0,0,0] row_mask:0xf bank_mask:0xf// 00000000DE60: 0BF130FA FF0000FE
	v_mul_f32_dpp v249, v254, v153 quad_perm:[1,1,1,1] row_mask:0xf bank_mask:0xf// 00000000DE68: 0BF332FA FF0055FE
	v_mul_f32_dpp v250, v254, v154 quad_perm:[2,2,2,2] row_mask:0xf bank_mask:0xf// 00000000DE70: 0BF534FA FF00AAFE
	v_mul_f32_dpp v251, v254, v155 quad_perm:[3,3,3,3] row_mask:0xf bank_mask:0xf// 00000000DE78: 0BF736FA FF00FFFE
	v_mul_f32_dpp v252, v255, v156 quad_perm:[0,0,0,0] row_mask:0xf bank_mask:0xf// 00000000DE80: 0BF938FA FF0000FF
	v_mul_f32_dpp v253, v255, v157 quad_perm:[1,1,1,1] row_mask:0xf bank_mask:0xf// 00000000DE88: 0BFB3AFA FF0055FF
	v_mul_f32_dpp v254, v255, v158 quad_perm:[2,2,2,2] row_mask:0xf bank_mask:0xf// 00000000DE90: 0BFD3CFA FF00AAFF
	v_mul_f32_dpp v255, v255, v159 quad_perm:[3,3,3,3] row_mask:0xf bank_mask:0xf// 00000000DE98: 0BFF3EFA FF00FFFF
	v_mov_b32_e32 v62, 0x358637bd                              // 00000000DEA0: 7E7C02FF 358637BD
	v_max3_f32 v62, |v240|, |v241|, v62                        // 00000000DEA8: D1D3033E 04FBE3F0
	v_max3_f32 v62, |v242|, |v243|, v62                        // 00000000DEB0: D1D3033E 04FBE7F2
	v_max3_f32 v62, |v244|, |v245|, v62                        // 00000000DEB8: D1D3033E 04FBEBF4
	v_max3_f32 v62, |v246|, |v247|, v62                        // 00000000DEC0: D1D3033E 04FBEFF6
	v_max3_f32 v62, |v248|, |v249|, v62                        // 00000000DEC8: D1D3033E 04FBF3F8
	v_max3_f32 v62, |v250|, |v251|, v62                        // 00000000DED0: D1D3033E 04FBF7FA
	v_max3_f32 v62, |v252|, |v253|, v62                        // 00000000DED8: D1D3033E 04FBFBFC
	v_max3_f32 v62, |v254|, |v255|, v62                        // 00000000DEE0: D1D3033E 04FBFFFE
	ds_write_b32 v11, v62 offset:20992                         // 00000000DEE8: D81A5200 00003E0B
	v_sub_f32_e32 v64, v15, v18                                // 00000000DEF0: 0480250F
	v_cndmask_b32_e64 v64, v64, 0, s[40:41]                    // 00000000DEF4: D1000040 00A10140
	v_mov_b32_e32 v15, v18                                     // 00000000DEFC: 7E1E0312
	v_mul_f32_e32 v64, s64, v64                                // 00000000DF00: 0A808040
	v_exp_f32_e32 v64, v64                                     // 00000000DF04: 7E804140
	s_waitcnt lgkmcnt(0)                                       // 00000000DF08: BF8CC07F
	s_barrier                                                  // 00000000DF0C: BF8A0000
	ds_read_b32 v80, v10 offset:20992                          // 00000000DF10: D86C5200 5000000A
	ds_read_b32 v81, v10 offset:21056                          // 00000000DF18: D86C5240 5100000A
	ds_read_b32 v82, v10 offset:21120                          // 00000000DF20: D86C5280 5200000A
	ds_read_b32 v83, v10 offset:21184                          // 00000000DF28: D86C52C0 5300000A
	ds_read_b32 v84, v10 offset:21248                          // 00000000DF30: D86C5300 5400000A
	ds_read_b32 v85, v10 offset:21312                          // 00000000DF38: D86C5340 5500000A
	ds_read_b32 v86, v10 offset:21376                          // 00000000DF40: D86C5380 5600000A
	ds_read_b32 v87, v10 offset:21440                          // 00000000DF48: D86C53C0 5700000A
	ds_read_b32 v88, v10 offset:21504                          // 00000000DF50: D86C5400 5800000A
	ds_read_b32 v89, v10 offset:21568                          // 00000000DF58: D86C5440 5900000A
	ds_read_b32 v90, v10 offset:21632                          // 00000000DF60: D86C5480 5A00000A
	ds_read_b32 v91, v10 offset:21696                          // 00000000DF68: D86C54C0 5B00000A
	ds_read_b32 v92, v10 offset:21760                          // 00000000DF70: D86C5500 5C00000A
	ds_read_b32 v93, v10 offset:21824                          // 00000000DF78: D86C5540 5D00000A
	ds_read_b32 v94, v10 offset:21888                          // 00000000DF80: D86C5580 5E00000A
	ds_read_b32 v95, v10 offset:21952                          // 00000000DF88: D86C55C0 5F00000A
	v_mul_f32_e32 v48, v64, v48                                // 00000000DF90: 0A606140
	v_mov_b32_e32 v18, v144                                    // 00000000DF94: 7E240390
	v_add_f32_e32 v18, v145, v18                               // 00000000DF98: 02242591
	v_add_f32_e32 v18, v146, v18                               // 00000000DF9C: 02242592
	v_add_f32_e32 v18, v147, v18                               // 00000000DFA0: 02242593
	v_add_f32_e32 v18, v148, v18                               // 00000000DFA4: 02242594
	v_add_f32_e32 v18, v149, v18                               // 00000000DFA8: 02242595
	v_add_f32_e32 v18, v150, v18                               // 00000000DFAC: 02242596
	v_add_f32_e32 v18, v151, v18                               // 00000000DFB0: 02242597
	v_add_f32_e32 v18, v152, v18                               // 00000000DFB4: 02242598
	v_add_f32_e32 v18, v153, v18                               // 00000000DFB8: 02242599
	v_add_f32_e32 v18, v154, v18                               // 00000000DFBC: 0224259A
	v_add_f32_e32 v18, v155, v18                               // 00000000DFC0: 0224259B
	v_add_f32_e32 v18, v156, v18                               // 00000000DFC4: 0224259C
	v_add_f32_e32 v18, v157, v18                               // 00000000DFC8: 0224259D
	v_add_f32_e32 v18, v158, v18                               // 00000000DFCC: 0224259E
	v_add_f32_e32 v18, v159, v18                               // 00000000DFD0: 0224259F
	v_add_f32_e32 v48, v18, v48                                // 00000000DFD4: 02606112
	s_waitcnt lgkmcnt(0)                                       // 00000000DFD8: BF8CC07F
	v_max3_f32 v62, |v80|, |v81|, v62                          // 00000000DFDC: D1D3033E 04FAA350
	v_max3_f32 v62, |v82|, |v83|, v62                          // 00000000DFE4: D1D3033E 04FAA752
	v_max3_f32 v62, |v84|, |v85|, v62                          // 00000000DFEC: D1D3033E 04FAAB54
	v_max3_f32 v62, |v86|, |v87|, v62                          // 00000000DFF4: D1D3033E 04FAAF56
	v_max3_f32 v62, |v88|, |v89|, v62                          // 00000000DFFC: D1D3033E 04FAB358
	v_max3_f32 v62, |v90|, |v91|, v62                          // 00000000E004: D1D3033E 04FAB75A
	v_max3_f32 v62, |v92|, |v93|, v62                          // 00000000E00C: D1D3033E 04FABB5C
	v_max3_f32 v62, |v94|, |v95|, v62                          // 00000000E014: D1D3033E 04FABF5E
	s_nop 2                                                    // 00000000E01C: BF800002
	v_rcp_f32_e32 v62, v62                                     // 00000000E020: 7E7C453E
	s_nop 1                                                    // 00000000E024: BF800001
	v_mul_f32_e32 v62, 0x42fe0000, v62                         // 00000000E028: 0A7C7CFF 42FE0000
	v_mul_f32_e32 v144, v62, v240                              // 00000000E030: 0B21E13E
	v_mul_f32_e32 v145, v62, v241                              // 00000000E034: 0B23E33E
	v_mul_f32_e32 v146, v62, v242                              // 00000000E038: 0B25E53E
	v_mul_f32_e32 v147, v62, v243                              // 00000000E03C: 0B27E73E
	v_mul_f32_e32 v148, v62, v244                              // 00000000E040: 0B29E93E
	v_mul_f32_e32 v149, v62, v245                              // 00000000E044: 0B2BEB3E
	v_mul_f32_e32 v150, v62, v246                              // 00000000E048: 0B2DED3E
	v_mul_f32_e32 v151, v62, v247                              // 00000000E04C: 0B2FEF3E
	v_mul_f32_e32 v152, v62, v248                              // 00000000E050: 0B31F13E
	v_mul_f32_e32 v153, v62, v249                              // 00000000E054: 0B33F33E
	v_mul_f32_e32 v154, v62, v250                              // 00000000E058: 0B35F53E
	v_mul_f32_e32 v155, v62, v251                              // 00000000E05C: 0B37F73E
	v_mul_f32_e32 v156, v62, v252                              // 00000000E060: 0B39F93E
	v_mul_f32_e32 v157, v62, v253                              // 00000000E064: 0B3BFB3E
	v_mul_f32_e32 v158, v62, v254                              // 00000000E068: 0B3DFD3E
	v_mul_f32_e32 v159, v62, v255                              // 00000000E06C: 0B3FFF3E
	v_cvt_i32_f32_e32 v144, v144                               // 00000000E070: 7F201190
	v_cvt_i32_f32_e32 v145, v145                               // 00000000E074: 7F221191
	v_cvt_i32_f32_e32 v146, v146                               // 00000000E078: 7F241192
	v_cvt_i32_f32_e32 v147, v147                               // 00000000E07C: 7F261193
	v_cvt_i32_f32_e32 v148, v148                               // 00000000E080: 7F281194
	v_cvt_i32_f32_e32 v149, v149                               // 00000000E084: 7F2A1195
	v_cvt_i32_f32_e32 v150, v150                               // 00000000E088: 7F2C1196
	v_cvt_i32_f32_e32 v151, v151                               // 00000000E08C: 7F2E1197
	v_cvt_i32_f32_e32 v152, v152                               // 00000000E090: 7F301198
	v_cvt_i32_f32_e32 v153, v153                               // 00000000E094: 7F321199
	v_cvt_i32_f32_e32 v154, v154                               // 00000000E098: 7F34119A
	v_cvt_i32_f32_e32 v155, v155                               // 00000000E09C: 7F36119B
	v_cvt_i32_f32_e32 v156, v156                               // 00000000E0A0: 7F38119C
	v_cvt_i32_f32_e32 v157, v157                               // 00000000E0A4: 7F3A119D
	v_cvt_i32_f32_e32 v158, v158                               // 00000000E0A8: 7F3C119E
	v_cvt_i32_f32_e32 v159, v159                               // 00000000E0AC: 7F3E119F
	v_perm_b32 v144, v145, v144, s53                           // 00000000E0B0: D1ED0090 00D72191
	v_perm_b32 v144, v146, v144, s54                           // 00000000E0B8: D1ED0090 00DB2192
	v_perm_b32 v144, v147, v144, s55                           // 00000000E0C0: D1ED0090 00DF2193
	v_perm_b32 v145, v149, v148, s53                           // 00000000E0C8: D1ED0091 00D72995
	v_perm_b32 v145, v150, v145, s54                           // 00000000E0D0: D1ED0091 00DB2396
	v_perm_b32 v145, v151, v145, s55                           // 00000000E0D8: D1ED0091 00DF2397
	v_perm_b32 v146, v153, v152, s53                           // 00000000E0E0: D1ED0092 00D73199
	v_perm_b32 v146, v154, v146, s54                           // 00000000E0E8: D1ED0092 00DB259A
	v_perm_b32 v146, v155, v146, s55                           // 00000000E0F0: D1ED0092 00DF259B
	v_perm_b32 v147, v157, v156, s53                           // 00000000E0F8: D1ED0093 00D7399D
	v_perm_b32 v147, v158, v147, s54                           // 00000000E100: D1ED0093 00DB279E
	v_perm_b32 v147, v159, v147, s55                           // 00000000E108: D1ED0093 00DF279F
	ds_write_b32 v13, v144 offset:29184                        // 00000000E110: D81A7200 0000900D
	ds_write_b32 v13, v145 offset:30208                        // 00000000E118: D81A7600 0000910D
	ds_write_b32 v13, v146 offset:31232                        // 00000000E120: D81A7A00 0000920D
	ds_write_b32 v13, v147 offset:32256                        // 00000000E128: D81A7E00 0000930D
	v_add_f32_e32 v232, v232, v200                             // 00000000E130: 03D191E8
	v_add_f32_e32 v233, v233, v201                             // 00000000E134: 03D393E9
	v_add_f32_e32 v234, v234, v202                             // 00000000E138: 03D595EA
	v_add_f32_e32 v235, v235, v203                             // 00000000E13C: 03D797EB
	v_add_f32_e32 v236, v236, v204                             // 00000000E140: 03D999EC
	v_add_f32_e32 v237, v237, v205                             // 00000000E144: 03DB9BED
	v_add_f32_e32 v238, v238, v206                             // 00000000E148: 03DD9DEE
	v_add_f32_e32 v239, v239, v207                             // 00000000E14C: 03DF9FEF
	v_rcp_f32_e32 v59, v62                                     // 00000000E150: 7E76453E
	s_waitcnt lgkmcnt(0)                                       // 00000000E154: BF8CC07F
	s_barrier                                                  // 00000000E158: BF8A0000
	ds_read_b64 v[144:145], v12 offset:29184                   // 00000000E15C: D8EC7200 9000000C
	ds_read_b64 v[146:147], v12 offset:29312                   // 00000000E164: D8EC7280 9200000C
	ds_read_b64 v[148:149], v12 offset:30208                   // 00000000E16C: D8EC7600 9400000C
	ds_read_b64 v[150:151], v12 offset:30336                   // 00000000E174: D8EC7680 9600000C
	ds_read_b64 v[152:153], v12 offset:31232                   // 00000000E17C: D8EC7A00 9800000C
	ds_read_b64 v[154:155], v12 offset:31360                   // 00000000E184: D8EC7A80 9A00000C
	ds_read_b64 v[156:157], v12 offset:32256                   // 00000000E18C: D8EC7E00 9C00000C
	ds_read_b64 v[158:159], v12 offset:32384                   // 00000000E194: D8EC7E80 9E00000C
	s_waitcnt vmcnt(15)                                        // 00000000E19C: BF8C0F7F
	v_mfma_i32_16x16x32_i8 v[192:195], a[64:65], v[128:129], 0 // 00000000E1A0: D3D700C0 0A030140
	buffer_load_dwordx4 a[112:115], v37, s[20:23], 0 offen offset:1024// 00000000E1A8: E05C1400 80857025
	v_mfma_i32_16x16x32_i8 v[192:195], a[66:67], v[130:131], v[192:195]// 00000000E1B0: D3D700C0 0F030542
	v_mfma_i32_16x16x32_i8 v[192:195], a[68:69], v[132:133], v[192:195]// 00000000E1B8: D3D700C0 0F030944
	v_mfma_i32_16x16x32_i8 v[192:195], a[70:71], v[134:135], v[192:195]// 00000000E1C0: D3D700C0 0F030D46
	v_mfma_i32_16x16x32_i8 v[192:195], a[72:73], v[136:137], v[192:195]// 00000000E1C8: D3D700C0 0F031148
	buffer_load_dwordx4 a[116:119], v38, s[20:23], 0 offen offset:1024// 00000000E1D0: E05C1400 80857426
	v_mfma_i32_16x16x32_i8 v[192:195], a[74:75], v[138:139], v[192:195]// 00000000E1D8: D3D700C0 0F03154A
	v_mfma_i32_16x16x32_i8 v[192:195], a[76:77], v[140:141], v[192:195]// 00000000E1E0: D3D700C0 0F03194C
	v_mfma_i32_16x16x32_i8 v[192:195], a[78:79], v[142:143], v[192:195]// 00000000E1E8: D3D700C0 0F031D4E
	v_mfma_i32_16x16x32_i8 v[196:199], a[80:81], v[128:129], 0 // 00000000E1F0: D3D700C4 0A030150
	buffer_load_dwordx4 a[120:123], v39, s[20:23], 0 offen offset:1024// 00000000E1F8: E05C1400 80857827
	v_mfma_i32_16x16x32_i8 v[196:199], a[82:83], v[130:131], v[196:199]// 00000000E200: D3D700C4 0F130552
	v_mfma_i32_16x16x32_i8 v[196:199], a[84:85], v[132:133], v[196:199]// 00000000E208: D3D700C4 0F130954
	v_mfma_i32_16x16x32_i8 v[196:199], a[86:87], v[134:135], v[196:199]// 00000000E210: D3D700C4 0F130D56
	v_mfma_i32_16x16x32_i8 v[196:199], a[88:89], v[136:137], v[196:199]// 00000000E218: D3D700C4 0F131158
	buffer_load_dwordx4 a[124:127], v40, s[20:23], 0 offen offset:1024// 00000000E220: E05C1400 80857C28
	v_mfma_i32_16x16x32_i8 v[196:199], a[90:91], v[138:139], v[196:199]// 00000000E228: D3D700C4 0F13155A
	v_mfma_i32_16x16x32_i8 v[196:199], a[92:93], v[140:141], v[196:199]// 00000000E230: D3D700C4 0F13195C
	s_lshr_b32 s57, s70, 4                                     // 00000000E238: 8F398446
	s_add_u32 s57, 48, s57                                     // 00000000E23C: 803939B0
	v_mfma_i32_16x16x32_i8 v[196:199], a[94:95], v[142:143], v[196:199]// 00000000E240: D3D700C4 0F131D5E
	s_cmp_ge_u32 s57, s73                                      // 00000000E248: BF094939
	s_cselect_b32 s56, 0, s56                                  // 00000000E24C: 85383880
	v_mfma_i32_16x16x32_i8 v[200:203], a[64:65], v[144:145], 0 // 00000000E250: D3D700C8 0A032140
	v_mfma_i32_16x16x32_i8 v[200:203], a[66:67], v[146:147], v[200:203]// 00000000E258: D3D700C8 0F232542
	v_mfma_i32_16x16x32_i8 v[200:203], a[68:69], v[148:149], v[200:203]// 00000000E260: D3D700C8 0F232944
	v_mfma_i32_16x16x32_i8 v[200:203], a[70:71], v[150:151], v[200:203]// 00000000E268: D3D700C8 0F232D46
	v_mfma_i32_16x16x32_i8 v[200:203], a[72:73], v[152:153], v[200:203]// 00000000E270: D3D700C8 0F233148
	v_mfma_i32_16x16x32_i8 v[200:203], a[74:75], v[154:155], v[200:203]// 00000000E278: D3D700C8 0F23354A
	v_mfma_i32_16x16x32_i8 v[200:203], a[76:77], v[156:157], v[200:203]// 00000000E280: D3D700C8 0F23394C
	v_mfma_i32_16x16x32_i8 v[200:203], a[78:79], v[158:159], v[200:203]// 00000000E288: D3D700C8 0F233D4E
	v_mfma_i32_16x16x32_i8 v[204:207], a[80:81], v[144:145], 0 // 00000000E290: D3D700CC 0A032150
	v_mfma_i32_16x16x32_i8 v[204:207], a[82:83], v[146:147], v[204:207]// 00000000E298: D3D700CC 0F332552
	v_mfma_i32_16x16x32_i8 v[204:207], a[84:85], v[148:149], v[204:207]// 00000000E2A0: D3D700CC 0F332954
	v_mfma_i32_16x16x32_i8 v[204:207], a[86:87], v[150:151], v[204:207]// 00000000E2A8: D3D700CC 0F332D56
	v_mfma_i32_16x16x32_i8 v[204:207], a[88:89], v[152:153], v[204:207]// 00000000E2B0: D3D700CC 0F333158
	v_mfma_i32_16x16x32_i8 v[204:207], a[90:91], v[154:155], v[204:207]// 00000000E2B8: D3D700CC 0F33355A
	v_mfma_i32_16x16x32_i8 v[204:207], a[92:93], v[156:157], v[204:207]// 00000000E2C0: D3D700CC 0F33395C
	v_mfma_i32_16x16x32_i8 v[204:207], a[94:95], v[158:159], v[204:207]// 00000000E2C8: D3D700CC 0F333D5E
	v_add_u32_e32 v1, s56, v1                                  // 00000000E2D0: 68020238
	s_addk_i32 s70, 0x100                                      // 00000000E2D4: B7460100
	s_cmp_lt_i32 s70, s71                                      // 00000000E2D8: BF044746
	s_cbranch_scc0 label_2B97                                  // 00000000E2DC: BF84FB5F
	s_waitcnt vmcnt(8) lgkmcnt(0)                              // 00000000E2E0: BF8C0078
	v_mul_u32_u24_dpp v41, v19, v68 row_newbcast:0 row_mask:0xf bank_mask:0xf// 00000000E2E4: 105288FA FF015013
	v_mul_u32_u24_dpp v42, v19, v68 row_newbcast:4 row_mask:0xf bank_mask:0xf// 00000000E2EC: 105488FA FF015413
	v_mul_u32_u24_dpp v43, v19, v68 row_newbcast:8 row_mask:0xf bank_mask:0xf// 00000000E2F4: 105688FA FF015813
	v_mul_u32_u24_dpp v44, v19, v68 row_newbcast:12 row_mask:0xf bank_mask:0xf// 00000000E2FC: 105888FA FF015C13
	v_add_u32_e32 v25, v41, v6                                 // 00000000E304: 68320D29
	v_add_u32_e32 v26, v42, v6                                 // 00000000E308: 68340D2A
	v_add_u32_e32 v27, v43, v6                                 // 00000000E30C: 68360D2B
	v_add_u32_e32 v28, v44, v6                                 // 00000000E310: 68380D2C
	v_mul_u32_u24_dpp v41, v19, v78 quad_perm:[0,0,0,0] row_mask:0xf bank_mask:0xf// 00000000E314: 10529CFA FF000013
	v_add_u32_e32 v2, v41, v74                                 // 00000000E31C: 68049529
	v_mul_u32_u24_dpp v41, v19, v78 quad_perm:[0,0,0,0] row_mask:0xf bank_mask:0xf// 00000000E320: 10529CFA FF000013
	v_add_u32_e32 v70, v41, v75                                // 00000000E328: 688C9729
	v_mfma_i32_16x16x32_i8 v[128:131], a[32:33], v[96:97], 0   // 00000000E32C: D3D70080 0A02C120
	buffer_load_dwordx4 a[0:3], v25, s[16:19], 0 offen         // 00000000E334: E05C1000 80840019
	v_mfma_i32_16x16x32_i8 v[128:131], a[34:35], v[98:99], v[128:131]// 00000000E33C: D3D70080 0E02C522
	v_mfma_i32_16x16x32_i8 v[128:131], a[36:37], v[100:101], v[128:131]// 00000000E344: D3D70080 0E02C924
	buffer_load_dword v20, v1, s[24:27], 0 offen               // 00000000E34C: E0501000 80061401
	v_mfma_i32_16x16x32_i8 v[128:131], a[38:39], v[102:103], v[128:131]// 00000000E354: D3D70080 0E02CD26
	v_mfma_i32_16x16x32_i8 v[132:135], a[40:41], v[96:97], 0   // 00000000E35C: D3D70084 0A02C128
	buffer_load_dwordx4 a[4:7], v25, s[16:19], 0 offen offset:1024// 00000000E364: E05C1400 80840419
	v_mfma_i32_16x16x32_i8 v[132:135], a[42:43], v[98:99], v[132:135]// 00000000E36C: D3D70084 0E12C52A
	v_mfma_i32_16x16x32_i8 v[132:135], a[44:45], v[100:101], v[132:135]// 00000000E374: D3D70084 0E12C92C
	v_mfma_i32_16x16x32_i8 v[132:135], a[46:47], v[102:103], v[132:135]// 00000000E37C: D3D70084 0E12CD2E
	v_mfma_i32_16x16x32_i8 v[136:139], a[48:49], v[96:97], 0   // 00000000E384: D3D70088 0A02C130
	buffer_load_dwordx4 a[8:11], v26, s[16:19], 0 offen        // 00000000E38C: E05C1000 8084081A
	v_mfma_i32_16x16x32_i8 v[136:139], a[50:51], v[98:99], v[136:139]// 00000000E394: D3D70088 0E22C532
	v_mfma_i32_16x16x32_i8 v[136:139], a[52:53], v[100:101], v[136:139]// 00000000E39C: D3D70088 0E22C934
	v_mfma_i32_16x16x32_i8 v[136:139], a[54:55], v[102:103], v[136:139]// 00000000E3A4: D3D70088 0E22CD36
	v_mfma_i32_16x16x32_i8 v[140:143], a[56:57], v[96:97], 0   // 00000000E3AC: D3D7008C 0A02C138
	buffer_load_dwordx4 a[12:15], v26, s[16:19], 0 offen offset:1024// 00000000E3B4: E05C1400 80840C1A
	v_mfma_i32_16x16x32_i8 v[140:143], a[58:59], v[98:99], v[140:143]// 00000000E3BC: D3D7008C 0E32C53A
	v_mfma_i32_16x16x32_i8 v[140:143], a[60:61], v[100:101], v[140:143]// 00000000E3C4: D3D7008C 0E32C93C
	v_mfma_i32_16x16x32_i8 v[140:143], a[62:63], v[102:103], v[140:143]// 00000000E3CC: D3D7008C 0E32CD3E
	v_mfma_i32_16x16x32_i8 v[144:147], a[32:33], v[104:105], 0 // 00000000E3D4: D3D70090 0A02D120
	v_mfma_i32_16x16x32_i8 v[144:147], a[34:35], v[106:107], v[144:147]// 00000000E3DC: D3D70090 0E42D522
	v_mfma_i32_16x16x32_i8 v[144:147], a[36:37], v[108:109], v[144:147]// 00000000E3E4: D3D70090 0E42D924
	v_mfma_i32_16x16x32_i8 v[144:147], a[38:39], v[110:111], v[144:147]// 00000000E3EC: D3D70090 0E42DD26
	v_mfma_i32_16x16x32_i8 v[148:151], a[40:41], v[104:105], 0 // 00000000E3F4: D3D70094 0A02D128
	v_mfma_i32_16x16x32_i8 v[148:151], a[42:43], v[106:107], v[148:151]// 00000000E3FC: D3D70094 0E52D52A
	v_mfma_i32_16x16x32_i8 v[148:151], a[44:45], v[108:109], v[148:151]// 00000000E404: D3D70094 0E52D92C
	v_mfma_i32_16x16x32_i8 v[148:151], a[46:47], v[110:111], v[148:151]// 00000000E40C: D3D70094 0E52DD2E
	v_mfma_i32_16x16x32_i8 v[152:155], a[48:49], v[104:105], 0 // 00000000E414: D3D70098 0A02D130
	v_mfma_i32_16x16x32_i8 v[152:155], a[50:51], v[106:107], v[152:155]// 00000000E41C: D3D70098 0E62D532
	v_mfma_i32_16x16x32_i8 v[152:155], a[52:53], v[108:109], v[152:155]// 00000000E424: D3D70098 0E62D934
	v_mfma_i32_16x16x32_i8 v[152:155], a[54:55], v[110:111], v[152:155]// 00000000E42C: D3D70098 0E62DD36
	v_mfma_i32_16x16x32_i8 v[156:159], a[56:57], v[104:105], 0 // 00000000E434: D3D7009C 0A02D138
	v_mfma_i32_16x16x32_i8 v[156:159], a[58:59], v[106:107], v[156:159]// 00000000E43C: D3D7009C 0E72D53A
	v_mfma_i32_16x16x32_i8 v[156:159], a[60:61], v[108:109], v[156:159]// 00000000E444: D3D7009C 0E72D93C
	v_mfma_i32_16x16x32_i8 v[156:159], a[62:63], v[110:111], v[156:159]// 00000000E44C: D3D7009C 0E72DD3E
	buffer_load_dword v52, v2, s[32:35], 0 offen               // 00000000E454: E0501000 80083402
	v_mov_b32_dpp v41, v53 row_shr:4 row_mask:0xf bank_mask:0xf// 00000000E45C: 7E5202FA FF011435
	v_mov_b32_dpp v42, v53 row_shl:4 row_mask:0xf bank_mask:0xf// 00000000E464: 7E5402FA FF010435
	v_cndmask_b32_e64 v248, v53, v41, s[44:45]                 // 00000000E46C: D10000F8 00B25335
	v_cndmask_b32_e64 v249, v42, v53, s[44:45]                 // 00000000E474: D10000F9 00B26B2A
	v_mov_b32_dpp v41, v248 row_shr:8 row_mask:0xf bank_mask:0xf// 00000000E47C: 7E5202FA FF0118F8
	v_mov_b32_dpp v42, v248 row_shl:8 row_mask:0xf bank_mask:0xf// 00000000E484: 7E5402FA FF0108F8
	v_mov_b32_dpp v43, v249 row_shr:8 row_mask:0xf bank_mask:0xf// 00000000E48C: 7E5602FA FF0118F9
	v_mov_b32_dpp v44, v249 row_shl:8 row_mask:0xf bank_mask:0xf// 00000000E494: 7E5802FA FF0108F9
	v_mov_b32_e32 v45, v248                                    // 00000000E49C: 7E5A03F8
	v_mov_b32_e32 v46, v249                                    // 00000000E4A0: 7E5C03F9
	v_cndmask_b32_e64 v248, v45, v41, s[42:43]                 // 00000000E4A4: D10000F8 00AA532D
	v_cndmask_b32_e64 v250, v45, v42, s[78:79]                 // 00000000E4AC: D10000FA 013A552D
	v_cndmask_b32_e64 v249, v46, v43, s[42:43]                 // 00000000E4B4: D10000F9 00AA572E
	v_cndmask_b32_e64 v251, v46, v44, s[78:79]                 // 00000000E4BC: D10000FB 013A592E
	v_mov_b32_dpp v41, v73 row_shr:4 row_mask:0xf bank_mask:0xf// 00000000E4C4: 7E5202FA FF011449
	v_mov_b32_dpp v42, v73 row_shl:4 row_mask:0xf bank_mask:0xf// 00000000E4CC: 7E5402FA FF010449
	v_cndmask_b32_e64 v252, v73, v41, s[44:45]                 // 00000000E4D4: D10000FC 00B25349
	v_cndmask_b32_e64 v253, v42, v73, s[44:45]                 // 00000000E4DC: D10000FD 00B2932A
	v_mov_b32_dpp v41, v252 row_shr:8 row_mask:0xf bank_mask:0xf// 00000000E4E4: 7E5202FA FF0118FC
	v_mov_b32_dpp v42, v252 row_shl:8 row_mask:0xf bank_mask:0xf// 00000000E4EC: 7E5402FA FF0108FC
	v_mov_b32_dpp v43, v253 row_shr:8 row_mask:0xf bank_mask:0xf// 00000000E4F4: 7E5602FA FF0118FD
	v_mov_b32_dpp v44, v253 row_shl:8 row_mask:0xf bank_mask:0xf// 00000000E4FC: 7E5802FA FF0108FD
	v_mov_b32_e32 v45, v252                                    // 00000000E504: 7E5A03FC
	v_mov_b32_e32 v46, v253                                    // 00000000E508: 7E5C03FD
	v_cndmask_b32_e64 v252, v45, v41, s[42:43]                 // 00000000E50C: D10000FC 00AA532D
	v_cndmask_b32_e64 v254, v45, v42, s[78:79]                 // 00000000E514: D10000FE 013A552D
	v_cndmask_b32_e64 v253, v46, v43, s[42:43]                 // 00000000E51C: D10000FD 00AA572E
	v_cndmask_b32_e64 v255, v46, v44, s[78:79]                 // 00000000E524: D10000FF 013A592E
	buffer_load_dword v72, v70, s[36:39], 0 offen              // 00000000E52C: E0501000 80094846
	v_cvt_f32_i32_e32 v128, v128                               // 00000000E534: 7F000B80
	v_cvt_f32_i32_e32 v129, v129                               // 00000000E538: 7F020B81
	v_cvt_f32_i32_e32 v130, v130                               // 00000000E53C: 7F040B82
	v_cvt_f32_i32_e32 v131, v131                               // 00000000E540: 7F060B83
	v_cvt_f32_i32_e32 v132, v132                               // 00000000E544: 7F080B84
	v_cvt_f32_i32_e32 v133, v133                               // 00000000E548: 7F0A0B85
	v_cvt_f32_i32_e32 v134, v134                               // 00000000E54C: 7F0C0B86
	v_cvt_f32_i32_e32 v135, v135                               // 00000000E550: 7F0E0B87
	v_cvt_f32_i32_e32 v136, v136                               // 00000000E554: 7F100B88
	v_cvt_f32_i32_e32 v137, v137                               // 00000000E558: 7F120B89
	v_cvt_f32_i32_e32 v138, v138                               // 00000000E55C: 7F140B8A
	v_cvt_f32_i32_e32 v139, v139                               // 00000000E560: 7F160B8B
	v_cvt_f32_i32_e32 v140, v140                               // 00000000E564: 7F180B8C
	v_cvt_f32_i32_e32 v141, v141                               // 00000000E568: 7F1A0B8D
	v_cvt_f32_i32_e32 v142, v142                               // 00000000E56C: 7F1C0B8E
	v_cvt_f32_i32_e32 v143, v143                               // 00000000E570: 7F1E0B8F
	v_mul_f32_e32 v128, v54, v128                              // 00000000E574: 0B010136
	v_mul_f32_e32 v129, v54, v129                              // 00000000E578: 0B030336
	v_mul_f32_e32 v130, v54, v130                              // 00000000E57C: 0B050536
	v_mul_f32_e32 v131, v54, v131                              // 00000000E580: 0B070736
	v_mul_f32_e32 v132, v54, v132                              // 00000000E584: 0B090936
	v_mul_f32_e32 v133, v54, v133                              // 00000000E588: 0B0B0B36
	v_mul_f32_e32 v134, v54, v134                              // 00000000E58C: 0B0D0D36
	v_mul_f32_e32 v135, v54, v135                              // 00000000E590: 0B0F0F36
	v_mul_f32_e32 v136, v54, v136                              // 00000000E594: 0B111136
	v_mul_f32_e32 v137, v54, v137                              // 00000000E598: 0B131336
	v_mul_f32_e32 v138, v54, v138                              // 00000000E59C: 0B151536
	v_mul_f32_e32 v139, v54, v139                              // 00000000E5A0: 0B171736
	v_mul_f32_e32 v140, v54, v140                              // 00000000E5A4: 0B191936
	v_mul_f32_e32 v141, v54, v141                              // 00000000E5A8: 0B1B1B36
	v_mul_f32_e32 v142, v54, v142                              // 00000000E5AC: 0B1D1D36
	v_mul_f32_e32 v143, v54, v143                              // 00000000E5B0: 0B1F1F36
	buffer_load_dwordx4 a[16:19], v27, s[16:19], 0 offen       // 00000000E5B4: E05C1000 8084101B
	v_mul_f32_dpp v128, v248, v128 quad_perm:[0,0,0,0] row_mask:0xf bank_mask:0xf// 00000000E5BC: 0B0100FA FF0000F8
	v_mul_f32_dpp v129, v248, v129 quad_perm:[1,1,1,1] row_mask:0xf bank_mask:0xf// 00000000E5C4: 0B0302FA FF0055F8
	v_mul_f32_dpp v130, v248, v130 quad_perm:[2,2,2,2] row_mask:0xf bank_mask:0xf// 00000000E5CC: 0B0504FA FF00AAF8
	v_mul_f32_dpp v131, v248, v131 quad_perm:[3,3,3,3] row_mask:0xf bank_mask:0xf// 00000000E5D4: 0B0706FA FF00FFF8
	v_mul_f32_dpp v132, v249, v132 quad_perm:[0,0,0,0] row_mask:0xf bank_mask:0xf// 00000000E5DC: 0B0908FA FF0000F9
	v_mul_f32_dpp v133, v249, v133 quad_perm:[1,1,1,1] row_mask:0xf bank_mask:0xf// 00000000E5E4: 0B0B0AFA FF0055F9
	v_mul_f32_dpp v134, v249, v134 quad_perm:[2,2,2,2] row_mask:0xf bank_mask:0xf// 00000000E5EC: 0B0D0CFA FF00AAF9
	v_mul_f32_dpp v135, v249, v135 quad_perm:[3,3,3,3] row_mask:0xf bank_mask:0xf// 00000000E5F4: 0B0F0EFA FF00FFF9
	v_mul_f32_dpp v136, v250, v136 quad_perm:[0,0,0,0] row_mask:0xf bank_mask:0xf// 00000000E5FC: 0B1110FA FF0000FA
	v_mul_f32_dpp v137, v250, v137 quad_perm:[1,1,1,1] row_mask:0xf bank_mask:0xf// 00000000E604: 0B1312FA FF0055FA
	v_mul_f32_dpp v138, v250, v138 quad_perm:[2,2,2,2] row_mask:0xf bank_mask:0xf// 00000000E60C: 0B1514FA FF00AAFA
	v_mul_f32_dpp v139, v250, v139 quad_perm:[3,3,3,3] row_mask:0xf bank_mask:0xf// 00000000E614: 0B1716FA FF00FFFA
	v_mul_f32_dpp v140, v251, v140 quad_perm:[0,0,0,0] row_mask:0xf bank_mask:0xf// 00000000E61C: 0B1918FA FF0000FB
	v_mul_f32_dpp v141, v251, v141 quad_perm:[1,1,1,1] row_mask:0xf bank_mask:0xf// 00000000E624: 0B1B1AFA FF0055FB
	v_mul_f32_dpp v142, v251, v142 quad_perm:[2,2,2,2] row_mask:0xf bank_mask:0xf// 00000000E62C: 0B1D1CFA FF00AAFB
	v_mul_f32_dpp v143, v251, v143 quad_perm:[3,3,3,3] row_mask:0xf bank_mask:0xf// 00000000E634: 0B1F1EFA FF00FFFB
	buffer_load_dwordx4 a[20:23], v27, s[16:19], 0 offen offset:1024// 00000000E63C: E05C1400 8084141B
	v_mov_b32_e32 v62, v128                                    // 00000000E644: 7E7C0380
	v_max3_f32 v62, v128, v129, v62                            // 00000000E648: D1D3003E 04FB0380
	v_max3_f32 v62, v130, v131, v62                            // 00000000E650: D1D3003E 04FB0782
	v_max3_f32 v62, v132, v133, v62                            // 00000000E658: D1D3003E 04FB0B84
	v_max3_f32 v62, v134, v135, v62                            // 00000000E660: D1D3003E 04FB0F86
	v_max3_f32 v62, v136, v137, v62                            // 00000000E668: D1D3003E 04FB1388
	v_max3_f32 v62, v138, v139, v62                            // 00000000E670: D1D3003E 04FB178A
	v_max3_f32 v62, v140, v141, v62                            // 00000000E678: D1D3003E 04FB1B8C
	v_max3_f32 v62, v142, v143, v62                            // 00000000E680: D1D3003E 04FB1F8E
	ds_write_b32 v11, v62 offset:16896                         // 00000000E688: D81A4200 00003E0B
	buffer_load_dwordx4 a[24:27], v28, s[16:19], 0 offen       // 00000000E690: E05C1000 8084181C
	v_mul_u32_u24_dpp v41, v19, v68 row_newbcast:1 row_mask:0xf bank_mask:0xf// 00000000E698: 105288FA FF015113
	v_mul_u32_u24_dpp v42, v19, v68 row_newbcast:5 row_mask:0xf bank_mask:0xf// 00000000E6A0: 105488FA FF015513
	v_mul_u32_u24_dpp v43, v19, v68 row_newbcast:9 row_mask:0xf bank_mask:0xf// 00000000E6A8: 105688FA FF015913
	v_mul_u32_u24_dpp v44, v19, v68 row_newbcast:13 row_mask:0xf bank_mask:0xf// 00000000E6B0: 105888FA FF015D13
	v_add_u32_e32 v33, v41, v7                                 // 00000000E6B8: 68420F29
	v_add_u32_e32 v34, v42, v7                                 // 00000000E6BC: 68440F2A
	v_add_u32_e32 v35, v43, v7                                 // 00000000E6C0: 68460F2B
	v_add_u32_e32 v36, v44, v7                                 // 00000000E6C4: 68480F2C
	v_mul_f32_e32 v224, v63, v224                              // 00000000E6C8: 0BC1C13F
	v_mul_f32_e32 v225, v63, v225                              // 00000000E6CC: 0BC3C33F
	v_mul_f32_e32 v226, v63, v226                              // 00000000E6D0: 0BC5C53F
	v_mul_f32_e32 v227, v63, v227                              // 00000000E6D4: 0BC7C73F
	v_mul_f32_e32 v228, v63, v228                              // 00000000E6D8: 0BC9C93F
	v_mul_f32_e32 v229, v63, v229                              // 00000000E6DC: 0BCBCB3F
	v_mul_f32_e32 v230, v63, v230                              // 00000000E6E0: 0BCDCD3F
	v_mul_f32_e32 v231, v63, v231                              // 00000000E6E4: 0BCFCF3F
	s_waitcnt lgkmcnt(0)                                       // 00000000E6E8: BF8CC07F
	s_barrier                                                  // 00000000E6EC: BF8A0000
	ds_read_b32 v80, v10 offset:16896                          // 00000000E6F0: D86C4200 5000000A
	ds_read_b32 v81, v10 offset:16960                          // 00000000E6F8: D86C4240 5100000A
	ds_read_b32 v82, v10 offset:17024                          // 00000000E700: D86C4280 5200000A
	ds_read_b32 v83, v10 offset:17088                          // 00000000E708: D86C42C0 5300000A
	ds_read_b32 v84, v10 offset:17152                          // 00000000E710: D86C4300 5400000A
	ds_read_b32 v85, v10 offset:17216                          // 00000000E718: D86C4340 5500000A
	ds_read_b32 v86, v10 offset:17280                          // 00000000E720: D86C4380 5600000A
	ds_read_b32 v87, v10 offset:17344                          // 00000000E728: D86C43C0 5700000A
	ds_read_b32 v88, v10 offset:17408                          // 00000000E730: D86C4400 5800000A
	ds_read_b32 v89, v10 offset:17472                          // 00000000E738: D86C4440 5900000A
	ds_read_b32 v90, v10 offset:17536                          // 00000000E740: D86C4480 5A00000A
	ds_read_b32 v91, v10 offset:17600                          // 00000000E748: D86C44C0 5B00000A
	ds_read_b32 v92, v10 offset:17664                          // 00000000E750: D86C4500 5C00000A
	ds_read_b32 v93, v10 offset:17728                          // 00000000E758: D86C4540 5D00000A
	ds_read_b32 v94, v10 offset:17792                          // 00000000E760: D86C4580 5E00000A
	ds_read_b32 v95, v10 offset:17856                          // 00000000E768: D86C45C0 5F00000A
	buffer_load_dwordx4 a[28:31], v28, s[16:19], 0 offen offset:1024// 00000000E770: E05C1400 80841C1C
	v_cvt_f32_i32_e32 v192, v192                               // 00000000E778: 7F800BC0
	v_cvt_f32_i32_e32 v193, v193                               // 00000000E77C: 7F820BC1
	v_cvt_f32_i32_e32 v194, v194                               // 00000000E780: 7F840BC2
	v_cvt_f32_i32_e32 v195, v195                               // 00000000E784: 7F860BC3
	v_cvt_f32_i32_e32 v196, v196                               // 00000000E788: 7F880BC4
	v_cvt_f32_i32_e32 v197, v197                               // 00000000E78C: 7F8A0BC5
	v_cvt_f32_i32_e32 v198, v198                               // 00000000E790: 7F8C0BC6
	v_cvt_f32_i32_e32 v199, v199                               // 00000000E794: 7F8E0BC7
	v_mul_f32_e32 v192, v58, v192                              // 00000000E798: 0B81813A
	v_mul_f32_e32 v193, v58, v193                              // 00000000E79C: 0B83833A
	v_mul_f32_e32 v194, v58, v194                              // 00000000E7A0: 0B85853A
	v_mul_f32_e32 v195, v58, v195                              // 00000000E7A4: 0B87873A
	v_mul_f32_e32 v196, v58, v196                              // 00000000E7A8: 0B89893A
	v_mul_f32_e32 v197, v58, v197                              // 00000000E7AC: 0B8B8B3A
	v_mul_f32_e32 v198, v58, v198                              // 00000000E7B0: 0B8D8D3A
	v_mul_f32_e32 v199, v58, v199                              // 00000000E7B4: 0B8F8F3A
	s_waitcnt lgkmcnt(0)                                       // 00000000E7B8: BF8CC07F
	v_max3_f32 v62, v80, v81, v62                              // 00000000E7BC: D1D3003E 04FAA350
	v_max3_f32 v62, v82, v83, v62                              // 00000000E7C4: D1D3003E 04FAA752
	v_max3_f32 v62, v84, v85, v62                              // 00000000E7CC: D1D3003E 04FAAB54
	v_max3_f32 v62, v86, v87, v62                              // 00000000E7D4: D1D3003E 04FAAF56
	v_max3_f32 v62, v88, v89, v62                              // 00000000E7DC: D1D3003E 04FAB358
	v_max3_f32 v62, v90, v91, v62                              // 00000000E7E4: D1D3003E 04FAB75A
	v_max3_f32 v62, v92, v93, v62                              // 00000000E7EC: D1D3003E 04FABB5C
	v_max3_f32 v62, v94, v95, v62                              // 00000000E7F4: D1D3003E 04FABF5E
	buffer_load_dwordx4 a[64:67], v33, s[20:23], 0 offen       // 00000000E7FC: E05C1000 80854021
	v_mov_b32_e32 v41, 0xff800000                              // 00000000E804: 7E5202FF FF800000
	v_cmp_eq_u32_e64 s[40:41], v41, v14                        // 00000000E80C: D0CA0028 00021D29
	s_nop 1                                                    // 00000000E814: BF800001
	v_max_f32_e32 v18, v62, v14                                // 00000000E818: 16241D3E
	v_mul_f32_e32 v67, s64, v18                                // 00000000E81C: 0A862440
	v_fma_f32 v128, v128, s64, -v67                            // 00000000E820: D1CB0080 850C8180
	v_fma_f32 v129, v129, s64, -v67                            // 00000000E828: D1CB0081 850C8181
	v_fma_f32 v130, v130, s64, -v67                            // 00000000E830: D1CB0082 850C8182
	v_fma_f32 v131, v131, s64, -v67                            // 00000000E838: D1CB0083 850C8183
	v_fma_f32 v132, v132, s64, -v67                            // 00000000E840: D1CB0084 850C8184
	v_fma_f32 v133, v133, s64, -v67                            // 00000000E848: D1CB0085 850C8185
	v_fma_f32 v134, v134, s64, -v67                            // 00000000E850: D1CB0086 850C8186
	v_fma_f32 v135, v135, s64, -v67                            // 00000000E858: D1CB0087 850C8187
	v_fma_f32 v136, v136, s64, -v67                            // 00000000E860: D1CB0088 850C8188
	v_fma_f32 v137, v137, s64, -v67                            // 00000000E868: D1CB0089 850C8189
	v_fma_f32 v138, v138, s64, -v67                            // 00000000E870: D1CB008A 850C818A
	v_fma_f32 v139, v139, s64, -v67                            // 00000000E878: D1CB008B 850C818B
	v_fma_f32 v140, v140, s64, -v67                            // 00000000E880: D1CB008C 850C818C
	v_fma_f32 v141, v141, s64, -v67                            // 00000000E888: D1CB008D 850C818D
	v_fma_f32 v142, v142, s64, -v67                            // 00000000E890: D1CB008E 850C818E
	v_fma_f32 v143, v143, s64, -v67                            // 00000000E898: D1CB008F 850C818F
	buffer_load_dwordx4 a[68:71], v34, s[20:23], 0 offen       // 00000000E8A0: E05C1000 80854422
	v_exp_f32_e32 v128, v128                                   // 00000000E8A8: 7F004180
	v_exp_f32_e32 v129, v129                                   // 00000000E8AC: 7F024181
	v_exp_f32_e32 v130, v130                                   // 00000000E8B0: 7F044182
	v_exp_f32_e32 v131, v131                                   // 00000000E8B4: 7F064183
	v_exp_f32_e32 v132, v132                                   // 00000000E8B8: 7F084184
	v_exp_f32_e32 v133, v133                                   // 00000000E8BC: 7F0A4185
	v_exp_f32_e32 v134, v134                                   // 00000000E8C0: 7F0C4186
	v_exp_f32_e32 v135, v135                                   // 00000000E8C4: 7F0E4187
	v_exp_f32_e32 v136, v136                                   // 00000000E8C8: 7F104188
	v_exp_f32_e32 v137, v137                                   // 00000000E8CC: 7F124189
	v_exp_f32_e32 v138, v138                                   // 00000000E8D0: 7F14418A
	v_exp_f32_e32 v139, v139                                   // 00000000E8D4: 7F16418B
	v_exp_f32_e32 v140, v140                                   // 00000000E8D8: 7F18418C
	v_exp_f32_e32 v141, v141                                   // 00000000E8DC: 7F1A418D
	v_exp_f32_e32 v142, v142                                   // 00000000E8E0: 7F1C418E
	v_exp_f32_e32 v143, v143                                   // 00000000E8E4: 7F1E418F
	buffer_load_dwordx4 a[72:75], v35, s[20:23], 0 offen       // 00000000E8E8: E05C1000 80854823
	v_mul_f32_dpp v240, v252, v128 quad_perm:[0,0,0,0] row_mask:0xf bank_mask:0xf// 00000000E8F0: 0BE100FA FF0000FC
	v_mul_f32_dpp v241, v252, v129 quad_perm:[1,1,1,1] row_mask:0xf bank_mask:0xf// 00000000E8F8: 0BE302FA FF0055FC
	v_mul_f32_dpp v242, v252, v130 quad_perm:[2,2,2,2] row_mask:0xf bank_mask:0xf// 00000000E900: 0BE504FA FF00AAFC
	v_mul_f32_dpp v243, v252, v131 quad_perm:[3,3,3,3] row_mask:0xf bank_mask:0xf// 00000000E908: 0BE706FA FF00FFFC
	v_mul_f32_dpp v244, v253, v132 quad_perm:[0,0,0,0] row_mask:0xf bank_mask:0xf// 00000000E910: 0BE908FA FF0000FD
	v_mul_f32_dpp v245, v253, v133 quad_perm:[1,1,1,1] row_mask:0xf bank_mask:0xf// 00000000E918: 0BEB0AFA FF0055FD
	v_mul_f32_dpp v246, v253, v134 quad_perm:[2,2,2,2] row_mask:0xf bank_mask:0xf// 00000000E920: 0BED0CFA FF00AAFD
	v_mul_f32_dpp v247, v253, v135 quad_perm:[3,3,3,3] row_mask:0xf bank_mask:0xf// 00000000E928: 0BEF0EFA FF00FFFD
	v_mul_f32_dpp v248, v254, v136 quad_perm:[0,0,0,0] row_mask:0xf bank_mask:0xf// 00000000E930: 0BF110FA FF0000FE
	v_mul_f32_dpp v249, v254, v137 quad_perm:[1,1,1,1] row_mask:0xf bank_mask:0xf// 00000000E938: 0BF312FA FF0055FE
	v_mul_f32_dpp v250, v254, v138 quad_perm:[2,2,2,2] row_mask:0xf bank_mask:0xf// 00000000E940: 0BF514FA FF00AAFE
	v_mul_f32_dpp v251, v254, v139 quad_perm:[3,3,3,3] row_mask:0xf bank_mask:0xf// 00000000E948: 0BF716FA FF00FFFE
	v_mul_f32_dpp v252, v255, v140 quad_perm:[0,0,0,0] row_mask:0xf bank_mask:0xf// 00000000E950: 0BF918FA FF0000FF
	v_mul_f32_dpp v253, v255, v141 quad_perm:[1,1,1,1] row_mask:0xf bank_mask:0xf// 00000000E958: 0BFB1AFA FF0055FF
	v_mul_f32_dpp v254, v255, v142 quad_perm:[2,2,2,2] row_mask:0xf bank_mask:0xf// 00000000E960: 0BFD1CFA FF00AAFF
	v_mul_f32_dpp v255, v255, v143 quad_perm:[3,3,3,3] row_mask:0xf bank_mask:0xf// 00000000E968: 0BFF1EFA FF00FFFF
	v_mov_b32_e32 v62, 0x358637bd                              // 00000000E970: 7E7C02FF 358637BD
	v_max3_f32 v62, |v240|, |v241|, v62                        // 00000000E978: D1D3033E 04FBE3F0
	v_max3_f32 v62, |v242|, |v243|, v62                        // 00000000E980: D1D3033E 04FBE7F2
	v_max3_f32 v62, |v244|, |v245|, v62                        // 00000000E988: D1D3033E 04FBEBF4
	v_max3_f32 v62, |v246|, |v247|, v62                        // 00000000E990: D1D3033E 04FBEFF6
	v_max3_f32 v62, |v248|, |v249|, v62                        // 00000000E998: D1D3033E 04FBF3F8
	v_max3_f32 v62, |v250|, |v251|, v62                        // 00000000E9A0: D1D3033E 04FBF7FA
	v_max3_f32 v62, |v252|, |v253|, v62                        // 00000000E9A8: D1D3033E 04FBFBFC
	v_max3_f32 v62, |v254|, |v255|, v62                        // 00000000E9B0: D1D3033E 04FBFFFE
	buffer_load_dwordx4 a[76:79], v36, s[20:23], 0 offen       // 00000000E9B8: E05C1000 80854C24
	ds_write_b32 v11, v62 offset:20992                         // 00000000E9C0: D81A5200 00003E0B
	v_sub_f32_e32 v63, v14, v18                                // 00000000E9C8: 047E250E
	v_cndmask_b32_e64 v63, v63, 0, s[40:41]                    // 00000000E9CC: D100003F 00A1013F
	v_mov_b32_e32 v14, v18                                     // 00000000E9D4: 7E1C0312
	v_mul_f32_e32 v63, s64, v63                                // 00000000E9D8: 0A7E7E40
	v_exp_f32_e32 v63, v63                                     // 00000000E9DC: 7E7E413F
	s_waitcnt lgkmcnt(0)                                       // 00000000E9E0: BF8CC07F
	s_barrier                                                  // 00000000E9E4: BF8A0000
	ds_read_b32 v80, v10 offset:20992                          // 00000000E9E8: D86C5200 5000000A
	ds_read_b32 v81, v10 offset:21056                          // 00000000E9F0: D86C5240 5100000A
	ds_read_b32 v82, v10 offset:21120                          // 00000000E9F8: D86C5280 5200000A
	ds_read_b32 v83, v10 offset:21184                          // 00000000EA00: D86C52C0 5300000A
	ds_read_b32 v84, v10 offset:21248                          // 00000000EA08: D86C5300 5400000A
	ds_read_b32 v85, v10 offset:21312                          // 00000000EA10: D86C5340 5500000A
	ds_read_b32 v86, v10 offset:21376                          // 00000000EA18: D86C5380 5600000A
	ds_read_b32 v87, v10 offset:21440                          // 00000000EA20: D86C53C0 5700000A
	ds_read_b32 v88, v10 offset:21504                          // 00000000EA28: D86C5400 5800000A
	ds_read_b32 v89, v10 offset:21568                          // 00000000EA30: D86C5440 5900000A
	ds_read_b32 v90, v10 offset:21632                          // 00000000EA38: D86C5480 5A00000A
	ds_read_b32 v91, v10 offset:21696                          // 00000000EA40: D86C54C0 5B00000A
	ds_read_b32 v92, v10 offset:21760                          // 00000000EA48: D86C5500 5C00000A
	ds_read_b32 v93, v10 offset:21824                          // 00000000EA50: D86C5540 5D00000A
	ds_read_b32 v94, v10 offset:21888                          // 00000000EA58: D86C5580 5E00000A
	ds_read_b32 v95, v10 offset:21952                          // 00000000EA60: D86C55C0 5F00000A
	v_mul_f32_e32 v47, v63, v47                                // 00000000EA68: 0A5E5F3F
	v_mov_b32_e32 v18, v128                                    // 00000000EA6C: 7E240380
	v_add_f32_e32 v18, v129, v18                               // 00000000EA70: 02242581
	v_add_f32_e32 v18, v130, v18                               // 00000000EA74: 02242582
	v_add_f32_e32 v18, v131, v18                               // 00000000EA78: 02242583
	v_add_f32_e32 v18, v132, v18                               // 00000000EA7C: 02242584
	v_add_f32_e32 v18, v133, v18                               // 00000000EA80: 02242585
	v_add_f32_e32 v18, v134, v18                               // 00000000EA84: 02242586
	v_add_f32_e32 v18, v135, v18                               // 00000000EA88: 02242587
	v_add_f32_e32 v18, v136, v18                               // 00000000EA8C: 02242588
	v_add_f32_e32 v18, v137, v18                               // 00000000EA90: 02242589
	v_add_f32_e32 v18, v138, v18                               // 00000000EA94: 0224258A
	v_add_f32_e32 v18, v139, v18                               // 00000000EA98: 0224258B
	v_add_f32_e32 v18, v140, v18                               // 00000000EA9C: 0224258C
	v_add_f32_e32 v18, v141, v18                               // 00000000EAA0: 0224258D
	v_add_f32_e32 v18, v142, v18                               // 00000000EAA4: 0224258E
	v_add_f32_e32 v18, v143, v18                               // 00000000EAA8: 0224258F
	v_add_f32_e32 v47, v18, v47                                // 00000000EAAC: 025E5F12
	s_waitcnt lgkmcnt(0)                                       // 00000000EAB0: BF8CC07F
	v_max3_f32 v62, |v80|, |v81|, v62                          // 00000000EAB4: D1D3033E 04FAA350
	v_max3_f32 v62, |v82|, |v83|, v62                          // 00000000EABC: D1D3033E 04FAA752
	v_max3_f32 v62, |v84|, |v85|, v62                          // 00000000EAC4: D1D3033E 04FAAB54
	v_max3_f32 v62, |v86|, |v87|, v62                          // 00000000EACC: D1D3033E 04FAAF56
	v_max3_f32 v62, |v88|, |v89|, v62                          // 00000000EAD4: D1D3033E 04FAB358
	v_max3_f32 v62, |v90|, |v91|, v62                          // 00000000EADC: D1D3033E 04FAB75A
	v_max3_f32 v62, |v92|, |v93|, v62                          // 00000000EAE4: D1D3033E 04FABB5C
	v_max3_f32 v62, |v94|, |v95|, v62                          // 00000000EAEC: D1D3033E 04FABF5E
	s_nop 2                                                    // 00000000EAF4: BF800002
	v_rcp_f32_e32 v62, v62                                     // 00000000EAF8: 7E7C453E
	s_nop 1                                                    // 00000000EAFC: BF800001
	v_mul_f32_e32 v62, 0x42fe0000, v62                         // 00000000EB00: 0A7C7CFF 42FE0000
	v_mul_f32_e32 v128, v62, v240                              // 00000000EB08: 0B01E13E
	v_mul_f32_e32 v129, v62, v241                              // 00000000EB0C: 0B03E33E
	v_mul_f32_e32 v130, v62, v242                              // 00000000EB10: 0B05E53E
	v_mul_f32_e32 v131, v62, v243                              // 00000000EB14: 0B07E73E
	v_mul_f32_e32 v132, v62, v244                              // 00000000EB18: 0B09E93E
	v_mul_f32_e32 v133, v62, v245                              // 00000000EB1C: 0B0BEB3E
	v_mul_f32_e32 v134, v62, v246                              // 00000000EB20: 0B0DED3E
	v_mul_f32_e32 v135, v62, v247                              // 00000000EB24: 0B0FEF3E
	v_mul_f32_e32 v136, v62, v248                              // 00000000EB28: 0B11F13E
	v_mul_f32_e32 v137, v62, v249                              // 00000000EB2C: 0B13F33E
	v_mul_f32_e32 v138, v62, v250                              // 00000000EB30: 0B15F53E
	v_mul_f32_e32 v139, v62, v251                              // 00000000EB34: 0B17F73E
	v_mul_f32_e32 v140, v62, v252                              // 00000000EB38: 0B19F93E
	v_mul_f32_e32 v141, v62, v253                              // 00000000EB3C: 0B1BFB3E
	v_mul_f32_e32 v142, v62, v254                              // 00000000EB40: 0B1DFD3E
	v_mul_f32_e32 v143, v62, v255                              // 00000000EB44: 0B1FFF3E
	v_cvt_i32_f32_e32 v128, v128                               // 00000000EB48: 7F001180
	v_cvt_i32_f32_e32 v129, v129                               // 00000000EB4C: 7F021181
	v_cvt_i32_f32_e32 v130, v130                               // 00000000EB50: 7F041182
	v_cvt_i32_f32_e32 v131, v131                               // 00000000EB54: 7F061183
	v_cvt_i32_f32_e32 v132, v132                               // 00000000EB58: 7F081184
	v_cvt_i32_f32_e32 v133, v133                               // 00000000EB5C: 7F0A1185
	v_cvt_i32_f32_e32 v134, v134                               // 00000000EB60: 7F0C1186
	v_cvt_i32_f32_e32 v135, v135                               // 00000000EB64: 7F0E1187
	v_cvt_i32_f32_e32 v136, v136                               // 00000000EB68: 7F101188
	v_cvt_i32_f32_e32 v137, v137                               // 00000000EB6C: 7F121189
	v_cvt_i32_f32_e32 v138, v138                               // 00000000EB70: 7F14118A
	v_cvt_i32_f32_e32 v139, v139                               // 00000000EB74: 7F16118B
	v_cvt_i32_f32_e32 v140, v140                               // 00000000EB78: 7F18118C
	v_cvt_i32_f32_e32 v141, v141                               // 00000000EB7C: 7F1A118D
	v_cvt_i32_f32_e32 v142, v142                               // 00000000EB80: 7F1C118E
	v_cvt_i32_f32_e32 v143, v143                               // 00000000EB84: 7F1E118F
	v_perm_b32 v128, v129, v128, s53                           // 00000000EB88: D1ED0080 00D70181
	v_perm_b32 v128, v130, v128, s54                           // 00000000EB90: D1ED0080 00DB0182
	v_perm_b32 v128, v131, v128, s55                           // 00000000EB98: D1ED0080 00DF0183
	v_perm_b32 v129, v133, v132, s53                           // 00000000EBA0: D1ED0081 00D70985
	v_perm_b32 v129, v134, v129, s54                           // 00000000EBA8: D1ED0081 00DB0386
	v_perm_b32 v129, v135, v129, s55                           // 00000000EBB0: D1ED0081 00DF0387
	v_perm_b32 v130, v137, v136, s53                           // 00000000EBB8: D1ED0082 00D71189
	v_perm_b32 v130, v138, v130, s54                           // 00000000EBC0: D1ED0082 00DB058A
	v_perm_b32 v130, v139, v130, s55                           // 00000000EBC8: D1ED0082 00DF058B
	v_perm_b32 v131, v141, v140, s53                           // 00000000EBD0: D1ED0083 00D7198D
	v_perm_b32 v131, v142, v131, s54                           // 00000000EBD8: D1ED0083 00DB078E
	v_perm_b32 v131, v143, v131, s55                           // 00000000EBE0: D1ED0083 00DF078F
	ds_write_b32 v13, v128 offset:25088                        // 00000000EBE8: D81A6200 0000800D
	ds_write_b32 v13, v129 offset:26112                        // 00000000EBF0: D81A6600 0000810D
	ds_write_b32 v13, v130 offset:27136                        // 00000000EBF8: D81A6A00 0000820D
	ds_write_b32 v13, v131 offset:28160                        // 00000000EC00: D81A6E00 0000830D
	v_add_f32_e32 v224, v224, v192                             // 00000000EC08: 03C181E0
	v_add_f32_e32 v225, v225, v193                             // 00000000EC0C: 03C383E1
	v_add_f32_e32 v226, v226, v194                             // 00000000EC10: 03C585E2
	v_add_f32_e32 v227, v227, v195                             // 00000000EC14: 03C787E3
	v_add_f32_e32 v228, v228, v196                             // 00000000EC18: 03C989E4
	v_add_f32_e32 v229, v229, v197                             // 00000000EC1C: 03CB8BE5
	v_add_f32_e32 v230, v230, v198                             // 00000000EC20: 03CD8DE6
	v_add_f32_e32 v231, v231, v199                             // 00000000EC24: 03CF8FE7
	v_rcp_f32_e32 v58, v62                                     // 00000000EC28: 7E74453E
	s_waitcnt lgkmcnt(0)                                       // 00000000EC2C: BF8CC07F
	s_barrier                                                  // 00000000EC30: BF8A0000
	ds_read_b64 v[128:129], v12 offset:25088                   // 00000000EC34: D8EC6200 8000000C
	ds_read_b64 v[130:131], v12 offset:25216                   // 00000000EC3C: D8EC6280 8200000C
	ds_read_b64 v[132:133], v12 offset:26112                   // 00000000EC44: D8EC6600 8400000C
	ds_read_b64 v[134:135], v12 offset:26240                   // 00000000EC4C: D8EC6680 8600000C
	ds_read_b64 v[136:137], v12 offset:27136                   // 00000000EC54: D8EC6A00 8800000C
	ds_read_b64 v[138:139], v12 offset:27264                   // 00000000EC5C: D8EC6A80 8A00000C
	ds_read_b64 v[140:141], v12 offset:28160                   // 00000000EC64: D8EC6E00 8C00000C
	ds_read_b64 v[142:143], v12 offset:28288                   // 00000000EC6C: D8EC6E80 8E00000C
	v_mov_b32_dpp v41, v53 row_shr:4 row_mask:0xf bank_mask:0xf// 00000000EC74: 7E5202FA FF011435
	v_mov_b32_dpp v42, v53 row_shl:4 row_mask:0xf bank_mask:0xf// 00000000EC7C: 7E5402FA FF010435
	v_cndmask_b32_e64 v248, v53, v41, s[44:45]                 // 00000000EC84: D10000F8 00B25335
	v_cndmask_b32_e64 v249, v42, v53, s[44:45]                 // 00000000EC8C: D10000F9 00B26B2A
	v_mov_b32_dpp v41, v248 row_shr:8 row_mask:0xf bank_mask:0xf// 00000000EC94: 7E5202FA FF0118F8
	v_mov_b32_dpp v42, v248 row_shl:8 row_mask:0xf bank_mask:0xf// 00000000EC9C: 7E5402FA FF0108F8
	v_mov_b32_dpp v43, v249 row_shr:8 row_mask:0xf bank_mask:0xf// 00000000ECA4: 7E5602FA FF0118F9
	v_mov_b32_dpp v44, v249 row_shl:8 row_mask:0xf bank_mask:0xf// 00000000ECAC: 7E5802FA FF0108F9
	v_mov_b32_e32 v45, v248                                    // 00000000ECB4: 7E5A03F8
	v_mov_b32_e32 v46, v249                                    // 00000000ECB8: 7E5C03F9
	v_cndmask_b32_e64 v248, v45, v41, s[42:43]                 // 00000000ECBC: D10000F8 00AA532D
	v_cndmask_b32_e64 v250, v45, v42, s[78:79]                 // 00000000ECC4: D10000FA 013A552D
	v_cndmask_b32_e64 v249, v46, v43, s[42:43]                 // 00000000ECCC: D10000F9 00AA572E
	v_cndmask_b32_e64 v251, v46, v44, s[78:79]                 // 00000000ECD4: D10000FB 013A592E
	v_mov_b32_dpp v41, v73 row_shr:4 row_mask:0xf bank_mask:0xf// 00000000ECDC: 7E5202FA FF011449
	v_mov_b32_dpp v42, v73 row_shl:4 row_mask:0xf bank_mask:0xf// 00000000ECE4: 7E5402FA FF010449
	v_cndmask_b32_e64 v252, v73, v41, s[44:45]                 // 00000000ECEC: D10000FC 00B25349
	v_cndmask_b32_e64 v253, v42, v73, s[44:45]                 // 00000000ECF4: D10000FD 00B2932A
	v_mov_b32_dpp v41, v252 row_shr:8 row_mask:0xf bank_mask:0xf// 00000000ECFC: 7E5202FA FF0118FC
	v_mov_b32_dpp v42, v252 row_shl:8 row_mask:0xf bank_mask:0xf// 00000000ED04: 7E5402FA FF0108FC
	v_mov_b32_dpp v43, v253 row_shr:8 row_mask:0xf bank_mask:0xf// 00000000ED0C: 7E5602FA FF0118FD
	v_mov_b32_dpp v44, v253 row_shl:8 row_mask:0xf bank_mask:0xf// 00000000ED14: 7E5802FA FF0108FD
	v_mov_b32_e32 v45, v252                                    // 00000000ED1C: 7E5A03FC
	v_mov_b32_e32 v46, v253                                    // 00000000ED20: 7E5C03FD
	v_cndmask_b32_e64 v252, v45, v41, s[42:43]                 // 00000000ED24: D10000FC 00AA532D
	v_cndmask_b32_e64 v254, v45, v42, s[78:79]                 // 00000000ED2C: D10000FE 013A552D
	v_cndmask_b32_e64 v253, v46, v43, s[42:43]                 // 00000000ED34: D10000FD 00AA572E
	v_cndmask_b32_e64 v255, v46, v44, s[78:79]                 // 00000000ED3C: D10000FF 013A592E
	v_cvt_f32_i32_e32 v144, v144                               // 00000000ED44: 7F200B90
	v_cvt_f32_i32_e32 v145, v145                               // 00000000ED48: 7F220B91
	v_cvt_f32_i32_e32 v146, v146                               // 00000000ED4C: 7F240B92
	v_cvt_f32_i32_e32 v147, v147                               // 00000000ED50: 7F260B93
	v_cvt_f32_i32_e32 v148, v148                               // 00000000ED54: 7F280B94
	v_cvt_f32_i32_e32 v149, v149                               // 00000000ED58: 7F2A0B95
	v_cvt_f32_i32_e32 v150, v150                               // 00000000ED5C: 7F2C0B96
	v_cvt_f32_i32_e32 v151, v151                               // 00000000ED60: 7F2E0B97
	v_cvt_f32_i32_e32 v152, v152                               // 00000000ED64: 7F300B98
	v_cvt_f32_i32_e32 v153, v153                               // 00000000ED68: 7F320B99
	v_cvt_f32_i32_e32 v154, v154                               // 00000000ED6C: 7F340B9A
	v_cvt_f32_i32_e32 v155, v155                               // 00000000ED70: 7F360B9B
	v_cvt_f32_i32_e32 v156, v156                               // 00000000ED74: 7F380B9C
	v_cvt_f32_i32_e32 v157, v157                               // 00000000ED78: 7F3A0B9D
	v_cvt_f32_i32_e32 v158, v158                               // 00000000ED7C: 7F3C0B9E
	v_cvt_f32_i32_e32 v159, v159                               // 00000000ED80: 7F3E0B9F
	v_mul_f32_e32 v144, v55, v144                              // 00000000ED84: 0B212137
	v_mul_f32_e32 v145, v55, v145                              // 00000000ED88: 0B232337
	v_mul_f32_e32 v146, v55, v146                              // 00000000ED8C: 0B252537
	v_mul_f32_e32 v147, v55, v147                              // 00000000ED90: 0B272737
	v_mul_f32_e32 v148, v55, v148                              // 00000000ED94: 0B292937
	v_mul_f32_e32 v149, v55, v149                              // 00000000ED98: 0B2B2B37
	v_mul_f32_e32 v150, v55, v150                              // 00000000ED9C: 0B2D2D37
	v_mul_f32_e32 v151, v55, v151                              // 00000000EDA0: 0B2F2F37
	v_mul_f32_e32 v152, v55, v152                              // 00000000EDA4: 0B313137
	v_mul_f32_e32 v153, v55, v153                              // 00000000EDA8: 0B333337
	v_mul_f32_e32 v154, v55, v154                              // 00000000EDAC: 0B353537
	v_mul_f32_e32 v155, v55, v155                              // 00000000EDB0: 0B373737
	v_mul_f32_e32 v156, v55, v156                              // 00000000EDB4: 0B393937
	v_mul_f32_e32 v157, v55, v157                              // 00000000EDB8: 0B3B3B37
	v_mul_f32_e32 v158, v55, v158                              // 00000000EDBC: 0B3D3D37
	v_mul_f32_e32 v159, v55, v159                              // 00000000EDC0: 0B3F3F37
	v_mul_f32_dpp v144, v248, v144 quad_perm:[0,0,0,0] row_mask:0xf bank_mask:0xf// 00000000EDC4: 0B2120FA FF0000F8
	v_mul_f32_dpp v145, v248, v145 quad_perm:[1,1,1,1] row_mask:0xf bank_mask:0xf// 00000000EDCC: 0B2322FA FF0055F8
	v_mul_f32_dpp v146, v248, v146 quad_perm:[2,2,2,2] row_mask:0xf bank_mask:0xf// 00000000EDD4: 0B2524FA FF00AAF8
	v_mul_f32_dpp v147, v248, v147 quad_perm:[3,3,3,3] row_mask:0xf bank_mask:0xf// 00000000EDDC: 0B2726FA FF00FFF8
	v_mul_f32_dpp v148, v249, v148 quad_perm:[0,0,0,0] row_mask:0xf bank_mask:0xf// 00000000EDE4: 0B2928FA FF0000F9
	v_mul_f32_dpp v149, v249, v149 quad_perm:[1,1,1,1] row_mask:0xf bank_mask:0xf// 00000000EDEC: 0B2B2AFA FF0055F9
	v_mul_f32_dpp v150, v249, v150 quad_perm:[2,2,2,2] row_mask:0xf bank_mask:0xf// 00000000EDF4: 0B2D2CFA FF00AAF9
	v_mul_f32_dpp v151, v249, v151 quad_perm:[3,3,3,3] row_mask:0xf bank_mask:0xf// 00000000EDFC: 0B2F2EFA FF00FFF9
	v_mul_f32_dpp v152, v250, v152 quad_perm:[0,0,0,0] row_mask:0xf bank_mask:0xf// 00000000EE04: 0B3130FA FF0000FA
	v_mul_f32_dpp v153, v250, v153 quad_perm:[1,1,1,1] row_mask:0xf bank_mask:0xf// 00000000EE0C: 0B3332FA FF0055FA
	v_mul_f32_dpp v154, v250, v154 quad_perm:[2,2,2,2] row_mask:0xf bank_mask:0xf// 00000000EE14: 0B3534FA FF00AAFA
	v_mul_f32_dpp v155, v250, v155 quad_perm:[3,3,3,3] row_mask:0xf bank_mask:0xf// 00000000EE1C: 0B3736FA FF00FFFA
	v_mul_f32_dpp v156, v251, v156 quad_perm:[0,0,0,0] row_mask:0xf bank_mask:0xf// 00000000EE24: 0B3938FA FF0000FB
	v_mul_f32_dpp v157, v251, v157 quad_perm:[1,1,1,1] row_mask:0xf bank_mask:0xf// 00000000EE2C: 0B3B3AFA FF0055FB
	v_mul_f32_dpp v158, v251, v158 quad_perm:[2,2,2,2] row_mask:0xf bank_mask:0xf// 00000000EE34: 0B3D3CFA FF00AAFB
	v_mul_f32_dpp v159, v251, v159 quad_perm:[3,3,3,3] row_mask:0xf bank_mask:0xf// 00000000EE3C: 0B3F3EFA FF00FFFB
	v_mov_b32_e32 v62, v144                                    // 00000000EE44: 7E7C0390
	v_max3_f32 v62, v144, v145, v62                            // 00000000EE48: D1D3003E 04FB2390
	v_max3_f32 v62, v146, v147, v62                            // 00000000EE50: D1D3003E 04FB2792
	v_max3_f32 v62, v148, v149, v62                            // 00000000EE58: D1D3003E 04FB2B94
	v_max3_f32 v62, v150, v151, v62                            // 00000000EE60: D1D3003E 04FB2F96
	v_max3_f32 v62, v152, v153, v62                            // 00000000EE68: D1D3003E 04FB3398
	v_max3_f32 v62, v154, v155, v62                            // 00000000EE70: D1D3003E 04FB379A
	v_max3_f32 v62, v156, v157, v62                            // 00000000EE78: D1D3003E 04FB3B9C
	v_max3_f32 v62, v158, v159, v62                            // 00000000EE80: D1D3003E 04FB3F9E
	ds_write_b32 v11, v62 offset:16896                         // 00000000EE88: D81A4200 00003E0B
	v_mul_f32_e32 v232, v64, v232                              // 00000000EE90: 0BD1D140
	v_mul_f32_e32 v233, v64, v233                              // 00000000EE94: 0BD3D340
	v_mul_f32_e32 v234, v64, v234                              // 00000000EE98: 0BD5D540
	v_mul_f32_e32 v235, v64, v235                              // 00000000EE9C: 0BD7D740
	v_mul_f32_e32 v236, v64, v236                              // 00000000EEA0: 0BD9D940
	v_mul_f32_e32 v237, v64, v237                              // 00000000EEA4: 0BDBDB40
	v_mul_f32_e32 v238, v64, v238                              // 00000000EEA8: 0BDDDD40
	v_mul_f32_e32 v239, v64, v239                              // 00000000EEAC: 0BDFDF40
	s_waitcnt lgkmcnt(0)                                       // 00000000EEB0: BF8CC07F
	s_barrier                                                  // 00000000EEB4: BF8A0000
	ds_read_b32 v80, v10 offset:16896                          // 00000000EEB8: D86C4200 5000000A
	ds_read_b32 v81, v10 offset:16960                          // 00000000EEC0: D86C4240 5100000A
	ds_read_b32 v82, v10 offset:17024                          // 00000000EEC8: D86C4280 5200000A
	ds_read_b32 v83, v10 offset:17088                          // 00000000EED0: D86C42C0 5300000A
	ds_read_b32 v84, v10 offset:17152                          // 00000000EED8: D86C4300 5400000A
	ds_read_b32 v85, v10 offset:17216                          // 00000000EEE0: D86C4340 5500000A
	ds_read_b32 v86, v10 offset:17280                          // 00000000EEE8: D86C4380 5600000A
	ds_read_b32 v87, v10 offset:17344                          // 00000000EEF0: D86C43C0 5700000A
	ds_read_b32 v88, v10 offset:17408                          // 00000000EEF8: D86C4400 5800000A
	ds_read_b32 v89, v10 offset:17472                          // 00000000EF00: D86C4440 5900000A
	ds_read_b32 v90, v10 offset:17536                          // 00000000EF08: D86C4480 5A00000A
	ds_read_b32 v91, v10 offset:17600                          // 00000000EF10: D86C44C0 5B00000A
	ds_read_b32 v92, v10 offset:17664                          // 00000000EF18: D86C4500 5C00000A
	ds_read_b32 v93, v10 offset:17728                          // 00000000EF20: D86C4540 5D00000A
	ds_read_b32 v94, v10 offset:17792                          // 00000000EF28: D86C4580 5E00000A
	ds_read_b32 v95, v10 offset:17856                          // 00000000EF30: D86C45C0 5F00000A
	v_cvt_f32_i32_e32 v200, v200                               // 00000000EF38: 7F900BC8
	v_cvt_f32_i32_e32 v201, v201                               // 00000000EF3C: 7F920BC9
	v_cvt_f32_i32_e32 v202, v202                               // 00000000EF40: 7F940BCA
	v_cvt_f32_i32_e32 v203, v203                               // 00000000EF44: 7F960BCB
	v_cvt_f32_i32_e32 v204, v204                               // 00000000EF48: 7F980BCC
	v_cvt_f32_i32_e32 v205, v205                               // 00000000EF4C: 7F9A0BCD
	v_cvt_f32_i32_e32 v206, v206                               // 00000000EF50: 7F9C0BCE
	v_cvt_f32_i32_e32 v207, v207                               // 00000000EF54: 7F9E0BCF
	v_mul_f32_e32 v200, v59, v200                              // 00000000EF58: 0B91913B
	v_mul_f32_e32 v201, v59, v201                              // 00000000EF5C: 0B93933B
	v_mul_f32_e32 v202, v59, v202                              // 00000000EF60: 0B95953B
	v_mul_f32_e32 v203, v59, v203                              // 00000000EF64: 0B97973B
	v_mul_f32_e32 v204, v59, v204                              // 00000000EF68: 0B99993B
	v_mul_f32_e32 v205, v59, v205                              // 00000000EF6C: 0B9B9B3B
	v_mul_f32_e32 v206, v59, v206                              // 00000000EF70: 0B9D9D3B
	v_mul_f32_e32 v207, v59, v207                              // 00000000EF74: 0B9F9F3B
	s_waitcnt lgkmcnt(0)                                       // 00000000EF78: BF8CC07F
	v_max3_f32 v62, v80, v81, v62                              // 00000000EF7C: D1D3003E 04FAA350
	v_max3_f32 v62, v82, v83, v62                              // 00000000EF84: D1D3003E 04FAA752
	v_max3_f32 v62, v84, v85, v62                              // 00000000EF8C: D1D3003E 04FAAB54
	v_max3_f32 v62, v86, v87, v62                              // 00000000EF94: D1D3003E 04FAAF56
	v_max3_f32 v62, v88, v89, v62                              // 00000000EF9C: D1D3003E 04FAB358
	v_max3_f32 v62, v90, v91, v62                              // 00000000EFA4: D1D3003E 04FAB75A
	v_max3_f32 v62, v92, v93, v62                              // 00000000EFAC: D1D3003E 04FABB5C
	v_max3_f32 v62, v94, v95, v62                              // 00000000EFB4: D1D3003E 04FABF5E
	v_mov_b32_e32 v41, 0xff800000                              // 00000000EFBC: 7E5202FF FF800000
	v_cmp_eq_u32_e64 s[40:41], v41, v15                        // 00000000EFC4: D0CA0028 00021F29
	s_nop 1                                                    // 00000000EFCC: BF800001
	v_max_f32_e32 v18, v62, v15                                // 00000000EFD0: 16241F3E
	v_mul_f32_e32 v67, s64, v18                                // 00000000EFD4: 0A862440
	v_fma_f32 v144, v144, s64, -v67                            // 00000000EFD8: D1CB0090 850C8190
	v_fma_f32 v145, v145, s64, -v67                            // 00000000EFE0: D1CB0091 850C8191
	v_fma_f32 v146, v146, s64, -v67                            // 00000000EFE8: D1CB0092 850C8192
	v_fma_f32 v147, v147, s64, -v67                            // 00000000EFF0: D1CB0093 850C8193
	v_fma_f32 v148, v148, s64, -v67                            // 00000000EFF8: D1CB0094 850C8194
	v_fma_f32 v149, v149, s64, -v67                            // 00000000F000: D1CB0095 850C8195
	v_fma_f32 v150, v150, s64, -v67                            // 00000000F008: D1CB0096 850C8196
	v_fma_f32 v151, v151, s64, -v67                            // 00000000F010: D1CB0097 850C8197
	v_fma_f32 v152, v152, s64, -v67                            // 00000000F018: D1CB0098 850C8198
	v_fma_f32 v153, v153, s64, -v67                            // 00000000F020: D1CB0099 850C8199
	v_fma_f32 v154, v154, s64, -v67                            // 00000000F028: D1CB009A 850C819A
	v_fma_f32 v155, v155, s64, -v67                            // 00000000F030: D1CB009B 850C819B
	v_fma_f32 v156, v156, s64, -v67                            // 00000000F038: D1CB009C 850C819C
	v_fma_f32 v157, v157, s64, -v67                            // 00000000F040: D1CB009D 850C819D
	v_fma_f32 v158, v158, s64, -v67                            // 00000000F048: D1CB009E 850C819E
	v_fma_f32 v159, v159, s64, -v67                            // 00000000F050: D1CB009F 850C819F
	v_exp_f32_e32 v144, v144                                   // 00000000F058: 7F204190
	v_exp_f32_e32 v145, v145                                   // 00000000F05C: 7F224191
	v_exp_f32_e32 v146, v146                                   // 00000000F060: 7F244192
	v_exp_f32_e32 v147, v147                                   // 00000000F064: 7F264193
	v_exp_f32_e32 v148, v148                                   // 00000000F068: 7F284194
	v_exp_f32_e32 v149, v149                                   // 00000000F06C: 7F2A4195
	v_exp_f32_e32 v150, v150                                   // 00000000F070: 7F2C4196
	v_exp_f32_e32 v151, v151                                   // 00000000F074: 7F2E4197
	v_exp_f32_e32 v152, v152                                   // 00000000F078: 7F304198
	v_exp_f32_e32 v153, v153                                   // 00000000F07C: 7F324199
	v_exp_f32_e32 v154, v154                                   // 00000000F080: 7F34419A
	v_exp_f32_e32 v155, v155                                   // 00000000F084: 7F36419B
	v_exp_f32_e32 v156, v156                                   // 00000000F088: 7F38419C
	v_exp_f32_e32 v157, v157                                   // 00000000F08C: 7F3A419D
	v_exp_f32_e32 v158, v158                                   // 00000000F090: 7F3C419E
	v_exp_f32_e32 v159, v159                                   // 00000000F094: 7F3E419F
	v_mul_f32_dpp v240, v252, v144 quad_perm:[0,0,0,0] row_mask:0xf bank_mask:0xf// 00000000F098: 0BE120FA FF0000FC
	v_mul_f32_dpp v241, v252, v145 quad_perm:[1,1,1,1] row_mask:0xf bank_mask:0xf// 00000000F0A0: 0BE322FA FF0055FC
	v_mul_f32_dpp v242, v252, v146 quad_perm:[2,2,2,2] row_mask:0xf bank_mask:0xf// 00000000F0A8: 0BE524FA FF00AAFC
	v_mul_f32_dpp v243, v252, v147 quad_perm:[3,3,3,3] row_mask:0xf bank_mask:0xf// 00000000F0B0: 0BE726FA FF00FFFC
	v_mul_f32_dpp v244, v253, v148 quad_perm:[0,0,0,0] row_mask:0xf bank_mask:0xf// 00000000F0B8: 0BE928FA FF0000FD
	v_mul_f32_dpp v245, v253, v149 quad_perm:[1,1,1,1] row_mask:0xf bank_mask:0xf// 00000000F0C0: 0BEB2AFA FF0055FD
	v_mul_f32_dpp v246, v253, v150 quad_perm:[2,2,2,2] row_mask:0xf bank_mask:0xf// 00000000F0C8: 0BED2CFA FF00AAFD
	v_mul_f32_dpp v247, v253, v151 quad_perm:[3,3,3,3] row_mask:0xf bank_mask:0xf// 00000000F0D0: 0BEF2EFA FF00FFFD
	v_mul_f32_dpp v248, v254, v152 quad_perm:[0,0,0,0] row_mask:0xf bank_mask:0xf// 00000000F0D8: 0BF130FA FF0000FE
	v_mul_f32_dpp v249, v254, v153 quad_perm:[1,1,1,1] row_mask:0xf bank_mask:0xf// 00000000F0E0: 0BF332FA FF0055FE
	v_mul_f32_dpp v250, v254, v154 quad_perm:[2,2,2,2] row_mask:0xf bank_mask:0xf// 00000000F0E8: 0BF534FA FF00AAFE
	v_mul_f32_dpp v251, v254, v155 quad_perm:[3,3,3,3] row_mask:0xf bank_mask:0xf// 00000000F0F0: 0BF736FA FF00FFFE
	v_mul_f32_dpp v252, v255, v156 quad_perm:[0,0,0,0] row_mask:0xf bank_mask:0xf// 00000000F0F8: 0BF938FA FF0000FF
	v_mul_f32_dpp v253, v255, v157 quad_perm:[1,1,1,1] row_mask:0xf bank_mask:0xf// 00000000F100: 0BFB3AFA FF0055FF
	v_mul_f32_dpp v254, v255, v158 quad_perm:[2,2,2,2] row_mask:0xf bank_mask:0xf// 00000000F108: 0BFD3CFA FF00AAFF
	v_mul_f32_dpp v255, v255, v159 quad_perm:[3,3,3,3] row_mask:0xf bank_mask:0xf// 00000000F110: 0BFF3EFA FF00FFFF
	v_mov_b32_e32 v62, 0x358637bd                              // 00000000F118: 7E7C02FF 358637BD
	v_max3_f32 v62, |v240|, |v241|, v62                        // 00000000F120: D1D3033E 04FBE3F0
	v_max3_f32 v62, |v242|, |v243|, v62                        // 00000000F128: D1D3033E 04FBE7F2
	v_max3_f32 v62, |v244|, |v245|, v62                        // 00000000F130: D1D3033E 04FBEBF4
	v_max3_f32 v62, |v246|, |v247|, v62                        // 00000000F138: D1D3033E 04FBEFF6
	v_max3_f32 v62, |v248|, |v249|, v62                        // 00000000F140: D1D3033E 04FBF3F8
	v_max3_f32 v62, |v250|, |v251|, v62                        // 00000000F148: D1D3033E 04FBF7FA
	v_max3_f32 v62, |v252|, |v253|, v62                        // 00000000F150: D1D3033E 04FBFBFC
	v_max3_f32 v62, |v254|, |v255|, v62                        // 00000000F158: D1D3033E 04FBFFFE
	ds_write_b32 v11, v62 offset:20992                         // 00000000F160: D81A5200 00003E0B
	v_sub_f32_e32 v64, v15, v18                                // 00000000F168: 0480250F
	v_cndmask_b32_e64 v64, v64, 0, s[40:41]                    // 00000000F16C: D1000040 00A10140
	v_mov_b32_e32 v15, v18                                     // 00000000F174: 7E1E0312
	v_mul_f32_e32 v64, s64, v64                                // 00000000F178: 0A808040
	v_exp_f32_e32 v64, v64                                     // 00000000F17C: 7E804140
	s_waitcnt lgkmcnt(0)                                       // 00000000F180: BF8CC07F
	s_barrier                                                  // 00000000F184: BF8A0000
	ds_read_b32 v80, v10 offset:20992                          // 00000000F188: D86C5200 5000000A
	ds_read_b32 v81, v10 offset:21056                          // 00000000F190: D86C5240 5100000A
	ds_read_b32 v82, v10 offset:21120                          // 00000000F198: D86C5280 5200000A
	ds_read_b32 v83, v10 offset:21184                          // 00000000F1A0: D86C52C0 5300000A
	ds_read_b32 v84, v10 offset:21248                          // 00000000F1A8: D86C5300 5400000A
	ds_read_b32 v85, v10 offset:21312                          // 00000000F1B0: D86C5340 5500000A
	ds_read_b32 v86, v10 offset:21376                          // 00000000F1B8: D86C5380 5600000A
	ds_read_b32 v87, v10 offset:21440                          // 00000000F1C0: D86C53C0 5700000A
	ds_read_b32 v88, v10 offset:21504                          // 00000000F1C8: D86C5400 5800000A
	ds_read_b32 v89, v10 offset:21568                          // 00000000F1D0: D86C5440 5900000A
	ds_read_b32 v90, v10 offset:21632                          // 00000000F1D8: D86C5480 5A00000A
	ds_read_b32 v91, v10 offset:21696                          // 00000000F1E0: D86C54C0 5B00000A
	ds_read_b32 v92, v10 offset:21760                          // 00000000F1E8: D86C5500 5C00000A
	ds_read_b32 v93, v10 offset:21824                          // 00000000F1F0: D86C5540 5D00000A
	ds_read_b32 v94, v10 offset:21888                          // 00000000F1F8: D86C5580 5E00000A
	ds_read_b32 v95, v10 offset:21952                          // 00000000F200: D86C55C0 5F00000A
	v_mul_f32_e32 v48, v64, v48                                // 00000000F208: 0A606140
	v_mov_b32_e32 v18, v144                                    // 00000000F20C: 7E240390
	v_add_f32_e32 v18, v145, v18                               // 00000000F210: 02242591
	v_add_f32_e32 v18, v146, v18                               // 00000000F214: 02242592
	v_add_f32_e32 v18, v147, v18                               // 00000000F218: 02242593
	v_add_f32_e32 v18, v148, v18                               // 00000000F21C: 02242594
	v_add_f32_e32 v18, v149, v18                               // 00000000F220: 02242595
	v_add_f32_e32 v18, v150, v18                               // 00000000F224: 02242596
	v_add_f32_e32 v18, v151, v18                               // 00000000F228: 02242597
	v_add_f32_e32 v18, v152, v18                               // 00000000F22C: 02242598
	v_add_f32_e32 v18, v153, v18                               // 00000000F230: 02242599
	v_add_f32_e32 v18, v154, v18                               // 00000000F234: 0224259A
	v_add_f32_e32 v18, v155, v18                               // 00000000F238: 0224259B
	v_add_f32_e32 v18, v156, v18                               // 00000000F23C: 0224259C
	v_add_f32_e32 v18, v157, v18                               // 00000000F240: 0224259D
	v_add_f32_e32 v18, v158, v18                               // 00000000F244: 0224259E
	v_add_f32_e32 v18, v159, v18                               // 00000000F248: 0224259F
	v_add_f32_e32 v48, v18, v48                                // 00000000F24C: 02606112
	s_waitcnt lgkmcnt(0)                                       // 00000000F250: BF8CC07F
	v_max3_f32 v62, |v80|, |v81|, v62                          // 00000000F254: D1D3033E 04FAA350
	v_max3_f32 v62, |v82|, |v83|, v62                          // 00000000F25C: D1D3033E 04FAA752
	v_max3_f32 v62, |v84|, |v85|, v62                          // 00000000F264: D1D3033E 04FAAB54
	v_max3_f32 v62, |v86|, |v87|, v62                          // 00000000F26C: D1D3033E 04FAAF56
	v_max3_f32 v62, |v88|, |v89|, v62                          // 00000000F274: D1D3033E 04FAB358
	v_max3_f32 v62, |v90|, |v91|, v62                          // 00000000F27C: D1D3033E 04FAB75A
	v_max3_f32 v62, |v92|, |v93|, v62                          // 00000000F284: D1D3033E 04FABB5C
	v_max3_f32 v62, |v94|, |v95|, v62                          // 00000000F28C: D1D3033E 04FABF5E
	s_nop 2                                                    // 00000000F294: BF800002
	v_rcp_f32_e32 v62, v62                                     // 00000000F298: 7E7C453E
	s_nop 1                                                    // 00000000F29C: BF800001
	v_mul_f32_e32 v62, 0x42fe0000, v62                         // 00000000F2A0: 0A7C7CFF 42FE0000
	v_mul_f32_e32 v144, v62, v240                              // 00000000F2A8: 0B21E13E
	v_mul_f32_e32 v145, v62, v241                              // 00000000F2AC: 0B23E33E
	v_mul_f32_e32 v146, v62, v242                              // 00000000F2B0: 0B25E53E
	v_mul_f32_e32 v147, v62, v243                              // 00000000F2B4: 0B27E73E
	v_mul_f32_e32 v148, v62, v244                              // 00000000F2B8: 0B29E93E
	v_mul_f32_e32 v149, v62, v245                              // 00000000F2BC: 0B2BEB3E
	v_mul_f32_e32 v150, v62, v246                              // 00000000F2C0: 0B2DED3E
	v_mul_f32_e32 v151, v62, v247                              // 00000000F2C4: 0B2FEF3E
	v_mul_f32_e32 v152, v62, v248                              // 00000000F2C8: 0B31F13E
	v_mul_f32_e32 v153, v62, v249                              // 00000000F2CC: 0B33F33E
	v_mul_f32_e32 v154, v62, v250                              // 00000000F2D0: 0B35F53E
	v_mul_f32_e32 v155, v62, v251                              // 00000000F2D4: 0B37F73E
	v_mul_f32_e32 v156, v62, v252                              // 00000000F2D8: 0B39F93E
	v_mul_f32_e32 v157, v62, v253                              // 00000000F2DC: 0B3BFB3E
	v_mul_f32_e32 v158, v62, v254                              // 00000000F2E0: 0B3DFD3E
	v_mul_f32_e32 v159, v62, v255                              // 00000000F2E4: 0B3FFF3E
	v_cvt_i32_f32_e32 v144, v144                               // 00000000F2E8: 7F201190
	v_cvt_i32_f32_e32 v145, v145                               // 00000000F2EC: 7F221191
	v_cvt_i32_f32_e32 v146, v146                               // 00000000F2F0: 7F241192
	v_cvt_i32_f32_e32 v147, v147                               // 00000000F2F4: 7F261193
	v_cvt_i32_f32_e32 v148, v148                               // 00000000F2F8: 7F281194
	v_cvt_i32_f32_e32 v149, v149                               // 00000000F2FC: 7F2A1195
	v_cvt_i32_f32_e32 v150, v150                               // 00000000F300: 7F2C1196
	v_cvt_i32_f32_e32 v151, v151                               // 00000000F304: 7F2E1197
	v_cvt_i32_f32_e32 v152, v152                               // 00000000F308: 7F301198
	v_cvt_i32_f32_e32 v153, v153                               // 00000000F30C: 7F321199
	v_cvt_i32_f32_e32 v154, v154                               // 00000000F310: 7F34119A
	v_cvt_i32_f32_e32 v155, v155                               // 00000000F314: 7F36119B
	v_cvt_i32_f32_e32 v156, v156                               // 00000000F318: 7F38119C
	v_cvt_i32_f32_e32 v157, v157                               // 00000000F31C: 7F3A119D
	v_cvt_i32_f32_e32 v158, v158                               // 00000000F320: 7F3C119E
	v_cvt_i32_f32_e32 v159, v159                               // 00000000F324: 7F3E119F
	v_perm_b32 v144, v145, v144, s53                           // 00000000F328: D1ED0090 00D72191
	v_perm_b32 v144, v146, v144, s54                           // 00000000F330: D1ED0090 00DB2192
	v_perm_b32 v144, v147, v144, s55                           // 00000000F338: D1ED0090 00DF2193
	v_perm_b32 v145, v149, v148, s53                           // 00000000F340: D1ED0091 00D72995
	v_perm_b32 v145, v150, v145, s54                           // 00000000F348: D1ED0091 00DB2396
	v_perm_b32 v145, v151, v145, s55                           // 00000000F350: D1ED0091 00DF2397
	v_perm_b32 v146, v153, v152, s53                           // 00000000F358: D1ED0092 00D73199
	v_perm_b32 v146, v154, v146, s54                           // 00000000F360: D1ED0092 00DB259A
	v_perm_b32 v146, v155, v146, s55                           // 00000000F368: D1ED0092 00DF259B
	v_perm_b32 v147, v157, v156, s53                           // 00000000F370: D1ED0093 00D7399D
	v_perm_b32 v147, v158, v147, s54                           // 00000000F378: D1ED0093 00DB279E
	v_perm_b32 v147, v159, v147, s55                           // 00000000F380: D1ED0093 00DF279F
	ds_write_b32 v13, v144 offset:29184                        // 00000000F388: D81A7200 0000900D
	ds_write_b32 v13, v145 offset:30208                        // 00000000F390: D81A7600 0000910D
	ds_write_b32 v13, v146 offset:31232                        // 00000000F398: D81A7A00 0000920D
	ds_write_b32 v13, v147 offset:32256                        // 00000000F3A0: D81A7E00 0000930D
	v_add_f32_e32 v232, v232, v200                             // 00000000F3A8: 03D191E8
	v_add_f32_e32 v233, v233, v201                             // 00000000F3AC: 03D393E9
	v_add_f32_e32 v234, v234, v202                             // 00000000F3B0: 03D595EA
	v_add_f32_e32 v235, v235, v203                             // 00000000F3B4: 03D797EB
	v_add_f32_e32 v236, v236, v204                             // 00000000F3B8: 03D999EC
	v_add_f32_e32 v237, v237, v205                             // 00000000F3BC: 03DB9BED
	v_add_f32_e32 v238, v238, v206                             // 00000000F3C0: 03DD9DEE
	v_add_f32_e32 v239, v239, v207                             // 00000000F3C4: 03DF9FEF
	v_rcp_f32_e32 v59, v62                                     // 00000000F3C8: 7E76453E
	s_waitcnt lgkmcnt(0)                                       // 00000000F3CC: BF8CC07F
	s_barrier                                                  // 00000000F3D0: BF8A0000
	ds_read_b64 v[144:145], v12 offset:29184                   // 00000000F3D4: D8EC7200 9000000C
	ds_read_b64 v[146:147], v12 offset:29312                   // 00000000F3DC: D8EC7280 9200000C
	ds_read_b64 v[148:149], v12 offset:30208                   // 00000000F3E4: D8EC7600 9400000C
	ds_read_b64 v[150:151], v12 offset:30336                   // 00000000F3EC: D8EC7680 9600000C
	ds_read_b64 v[152:153], v12 offset:31232                   // 00000000F3F4: D8EC7A00 9800000C
	ds_read_b64 v[154:155], v12 offset:31360                   // 00000000F3FC: D8EC7A80 9A00000C
	ds_read_b64 v[156:157], v12 offset:32256                   // 00000000F404: D8EC7E00 9C00000C
	ds_read_b64 v[158:159], v12 offset:32384                   // 00000000F40C: D8EC7E80 9E00000C
	s_waitcnt vmcnt(15)                                        // 00000000F414: BF8C0F7F
	v_mfma_i32_16x16x32_i8 v[192:195], a[96:97], v[128:129], 0 // 00000000F418: D3D700C0 0A030160
	buffer_load_dwordx4 a[80:83], v33, s[20:23], 0 offen offset:1024// 00000000F420: E05C1400 80855021
	v_mfma_i32_16x16x32_i8 v[192:195], a[98:99], v[130:131], v[192:195]// 00000000F428: D3D700C0 0F030562
	v_mfma_i32_16x16x32_i8 v[192:195], a[100:101], v[132:133], v[192:195]// 00000000F430: D3D700C0 0F030964
	v_mfma_i32_16x16x32_i8 v[192:195], a[102:103], v[134:135], v[192:195]// 00000000F438: D3D700C0 0F030D66
	v_mfma_i32_16x16x32_i8 v[192:195], a[104:105], v[136:137], v[192:195]// 00000000F440: D3D700C0 0F031168
	buffer_load_dwordx4 a[84:87], v34, s[20:23], 0 offen offset:1024// 00000000F448: E05C1400 80855422
	v_mfma_i32_16x16x32_i8 v[192:195], a[106:107], v[138:139], v[192:195]// 00000000F450: D3D700C0 0F03156A
	v_mfma_i32_16x16x32_i8 v[192:195], a[108:109], v[140:141], v[192:195]// 00000000F458: D3D700C0 0F03196C
	v_mfma_i32_16x16x32_i8 v[192:195], a[110:111], v[142:143], v[192:195]// 00000000F460: D3D700C0 0F031D6E
	v_mfma_i32_16x16x32_i8 v[196:199], a[112:113], v[128:129], 0// 00000000F468: D3D700C4 0A030170
	buffer_load_dwordx4 a[88:91], v35, s[20:23], 0 offen offset:1024// 00000000F470: E05C1400 80855823
	v_mfma_i32_16x16x32_i8 v[196:199], a[114:115], v[130:131], v[196:199]// 00000000F478: D3D700C4 0F130572
	v_mfma_i32_16x16x32_i8 v[196:199], a[116:117], v[132:133], v[196:199]// 00000000F480: D3D700C4 0F130974
	v_mfma_i32_16x16x32_i8 v[196:199], a[118:119], v[134:135], v[196:199]// 00000000F488: D3D700C4 0F130D76
	v_mfma_i32_16x16x32_i8 v[196:199], a[120:121], v[136:137], v[196:199]// 00000000F490: D3D700C4 0F131178
	buffer_load_dwordx4 a[92:95], v36, s[20:23], 0 offen offset:1024// 00000000F498: E05C1400 80855C24
	v_mfma_i32_16x16x32_i8 v[196:199], a[122:123], v[138:139], v[196:199]// 00000000F4A0: D3D700C4 0F13157A
	v_mfma_i32_16x16x32_i8 v[196:199], a[124:125], v[140:141], v[196:199]// 00000000F4A8: D3D700C4 0F13197C
	s_lshr_b32 s57, s70, 4                                     // 00000000F4B0: 8F398446
	s_add_u32 s57, 48, s57                                     // 00000000F4B4: 803939B0
	v_mfma_i32_16x16x32_i8 v[196:199], a[126:127], v[142:143], v[196:199]// 00000000F4B8: D3D700C4 0F131D7E
	s_cmp_ge_u32 s57, s73                                      // 00000000F4C0: BF094939
	s_cselect_b32 s56, 0, s56                                  // 00000000F4C4: 85383880
	v_mfma_i32_16x16x32_i8 v[200:203], a[96:97], v[144:145], 0 // 00000000F4C8: D3D700C8 0A032160
	v_mfma_i32_16x16x32_i8 v[200:203], a[98:99], v[146:147], v[200:203]// 00000000F4D0: D3D700C8 0F232562
	v_mfma_i32_16x16x32_i8 v[200:203], a[100:101], v[148:149], v[200:203]// 00000000F4D8: D3D700C8 0F232964
	v_mfma_i32_16x16x32_i8 v[200:203], a[102:103], v[150:151], v[200:203]// 00000000F4E0: D3D700C8 0F232D66
	v_mfma_i32_16x16x32_i8 v[200:203], a[104:105], v[152:153], v[200:203]// 00000000F4E8: D3D700C8 0F233168
	v_mfma_i32_16x16x32_i8 v[200:203], a[106:107], v[154:155], v[200:203]// 00000000F4F0: D3D700C8 0F23356A
	v_mfma_i32_16x16x32_i8 v[200:203], a[108:109], v[156:157], v[200:203]// 00000000F4F8: D3D700C8 0F23396C
	v_mfma_i32_16x16x32_i8 v[200:203], a[110:111], v[158:159], v[200:203]// 00000000F500: D3D700C8 0F233D6E
	v_mfma_i32_16x16x32_i8 v[204:207], a[112:113], v[144:145], 0// 00000000F508: D3D700CC 0A032170
	v_mfma_i32_16x16x32_i8 v[204:207], a[114:115], v[146:147], v[204:207]// 00000000F510: D3D700CC 0F332572
	v_mfma_i32_16x16x32_i8 v[204:207], a[116:117], v[148:149], v[204:207]// 00000000F518: D3D700CC 0F332974
	v_mfma_i32_16x16x32_i8 v[204:207], a[118:119], v[150:151], v[204:207]// 00000000F520: D3D700CC 0F332D76
	v_mfma_i32_16x16x32_i8 v[204:207], a[120:121], v[152:153], v[204:207]// 00000000F528: D3D700CC 0F333178
	v_mfma_i32_16x16x32_i8 v[204:207], a[122:123], v[154:155], v[204:207]// 00000000F530: D3D700CC 0F33357A
	v_mfma_i32_16x16x32_i8 v[204:207], a[124:125], v[156:157], v[204:207]// 00000000F538: D3D700CC 0F33397C
	v_mfma_i32_16x16x32_i8 v[204:207], a[126:127], v[158:159], v[204:207]// 00000000F540: D3D700CC 0F333D7E
	v_add_u32_e32 v1, s56, v1                                  // 00000000F548: 68020238
	s_addk_i32 s70, 0x100                                      // 00000000F54C: B7460100
	s_cmp_lt_i32 s70, s71                                      // 00000000F550: BF044746
	s_cbranch_scc0 label_2B97                                  // 00000000F554: BF84F6C1
	s_branch label_2B9A                                        // 00000000F558: BF82F6C3

000000000000f55c <label_34D7>:
	s_lshr_b32 s60, s71, 4                                     // 00000000F55C: 8F3C8447
	s_cmp_eq_i32 s60, s73                                      // 00000000F560: BF00493C
	s_cbranch_scc1 label_3F52                                  // 00000000F564: BF850A78
	s_lshr_b32 s60, s71, 8                                     // 00000000F568: 8F3C8847
	s_and_b32 s60, s60, 1                                      // 00000000F56C: 863C813C
	s_cmp_eq_i32 s60, 1                                        // 00000000F570: BF00813C
	s_cbranch_scc1 label_3A18                                  // 00000000F574: BF85053A
	s_waitcnt vmcnt(8) lgkmcnt(0)                              // 00000000F578: BF8C0078
	s_barrier                                                  // 00000000F57C: BF8A0000
	v_mfma_i32_16x16x32_i8 v[128:131], a[0:1], v[96:97], 0     // 00000000F580: D3D70080 0A02C100
	v_mfma_i32_16x16x32_i8 v[128:131], a[2:3], v[98:99], v[128:131]// 00000000F588: D3D70080 0E02C502
	v_mfma_i32_16x16x32_i8 v[128:131], a[4:5], v[100:101], v[128:131]// 00000000F590: D3D70080 0E02C904
	v_mfma_i32_16x16x32_i8 v[128:131], a[6:7], v[102:103], v[128:131]// 00000000F598: D3D70080 0E02CD06
	v_mfma_i32_16x16x32_i8 v[132:135], a[8:9], v[96:97], 0     // 00000000F5A0: D3D70084 0A02C108
	v_mfma_i32_16x16x32_i8 v[132:135], a[10:11], v[98:99], v[132:135]// 00000000F5A8: D3D70084 0E12C50A
	v_mfma_i32_16x16x32_i8 v[132:135], a[12:13], v[100:101], v[132:135]// 00000000F5B0: D3D70084 0E12C90C
	v_mfma_i32_16x16x32_i8 v[132:135], a[14:15], v[102:103], v[132:135]// 00000000F5B8: D3D70084 0E12CD0E
	v_mfma_i32_16x16x32_i8 v[136:139], a[16:17], v[96:97], 0   // 00000000F5C0: D3D70088 0A02C110
	v_mfma_i32_16x16x32_i8 v[136:139], a[18:19], v[98:99], v[136:139]// 00000000F5C8: D3D70088 0E22C512
	v_mfma_i32_16x16x32_i8 v[136:139], a[20:21], v[100:101], v[136:139]// 00000000F5D0: D3D70088 0E22C914
	v_mfma_i32_16x16x32_i8 v[136:139], a[22:23], v[102:103], v[136:139]// 00000000F5D8: D3D70088 0E22CD16
	v_mfma_i32_16x16x32_i8 v[140:143], a[24:25], v[96:97], 0   // 00000000F5E0: D3D7008C 0A02C118
	v_mfma_i32_16x16x32_i8 v[140:143], a[26:27], v[98:99], v[140:143]// 00000000F5E8: D3D7008C 0E32C51A
	v_mfma_i32_16x16x32_i8 v[140:143], a[28:29], v[100:101], v[140:143]// 00000000F5F0: D3D7008C 0E32C91C
	v_mfma_i32_16x16x32_i8 v[140:143], a[30:31], v[102:103], v[140:143]// 00000000F5F8: D3D7008C 0E32CD1E
	v_mfma_i32_16x16x32_i8 v[144:147], a[0:1], v[104:105], 0   // 00000000F600: D3D70090 0A02D100
	v_mfma_i32_16x16x32_i8 v[144:147], a[2:3], v[106:107], v[144:147]// 00000000F608: D3D70090 0E42D502
	v_mfma_i32_16x16x32_i8 v[144:147], a[4:5], v[108:109], v[144:147]// 00000000F610: D3D70090 0E42D904
	v_mfma_i32_16x16x32_i8 v[144:147], a[6:7], v[110:111], v[144:147]// 00000000F618: D3D70090 0E42DD06
	v_mfma_i32_16x16x32_i8 v[148:151], a[8:9], v[104:105], 0   // 00000000F620: D3D70094 0A02D108
	v_mfma_i32_16x16x32_i8 v[148:151], a[10:11], v[106:107], v[148:151]// 00000000F628: D3D70094 0E52D50A
	v_mfma_i32_16x16x32_i8 v[148:151], a[12:13], v[108:109], v[148:151]// 00000000F630: D3D70094 0E52D90C
	v_mfma_i32_16x16x32_i8 v[148:151], a[14:15], v[110:111], v[148:151]// 00000000F638: D3D70094 0E52DD0E
	v_mfma_i32_16x16x32_i8 v[152:155], a[16:17], v[104:105], 0 // 00000000F640: D3D70098 0A02D110
	v_mfma_i32_16x16x32_i8 v[152:155], a[18:19], v[106:107], v[152:155]// 00000000F648: D3D70098 0E62D512
	v_mfma_i32_16x16x32_i8 v[152:155], a[20:21], v[108:109], v[152:155]// 00000000F650: D3D70098 0E62D914
	v_mfma_i32_16x16x32_i8 v[152:155], a[22:23], v[110:111], v[152:155]// 00000000F658: D3D70098 0E62DD16
	v_mfma_i32_16x16x32_i8 v[156:159], a[24:25], v[104:105], 0 // 00000000F660: D3D7009C 0A02D118
	v_mfma_i32_16x16x32_i8 v[156:159], a[26:27], v[106:107], v[156:159]// 00000000F668: D3D7009C 0E72D51A
	v_mfma_i32_16x16x32_i8 v[156:159], a[28:29], v[108:109], v[156:159]// 00000000F670: D3D7009C 0E72D91C
	v_mfma_i32_16x16x32_i8 v[156:159], a[30:31], v[110:111], v[156:159]// 00000000F678: D3D7009C 0E72DD1E
	v_mov_b32_dpp v41, v52 row_shr:4 row_mask:0xf bank_mask:0xf// 00000000F680: 7E5202FA FF011434
	v_mov_b32_dpp v42, v52 row_shl:4 row_mask:0xf bank_mask:0xf// 00000000F688: 7E5402FA FF010434
	v_cndmask_b32_e64 v248, v52, v41, s[44:45]                 // 00000000F690: D10000F8 00B25334
	v_cndmask_b32_e64 v249, v42, v52, s[44:45]                 // 00000000F698: D10000F9 00B2692A
	v_mov_b32_dpp v41, v248 row_shr:8 row_mask:0xf bank_mask:0xf// 00000000F6A0: 7E5202FA FF0118F8
	v_mov_b32_dpp v42, v248 row_shl:8 row_mask:0xf bank_mask:0xf// 00000000F6A8: 7E5402FA FF0108F8
	v_mov_b32_dpp v43, v249 row_shr:8 row_mask:0xf bank_mask:0xf// 00000000F6B0: 7E5602FA FF0118F9
	v_mov_b32_dpp v44, v249 row_shl:8 row_mask:0xf bank_mask:0xf// 00000000F6B8: 7E5802FA FF0108F9
	v_mov_b32_e32 v45, v248                                    // 00000000F6C0: 7E5A03F8
	v_mov_b32_e32 v46, v249                                    // 00000000F6C4: 7E5C03F9
	v_cndmask_b32_e64 v248, v45, v41, s[42:43]                 // 00000000F6C8: D10000F8 00AA532D
	v_cndmask_b32_e64 v250, v45, v42, s[78:79]                 // 00000000F6D0: D10000FA 013A552D
	v_cndmask_b32_e64 v249, v46, v43, s[42:43]                 // 00000000F6D8: D10000F9 00AA572E
	v_cndmask_b32_e64 v251, v46, v44, s[78:79]                 // 00000000F6E0: D10000FB 013A592E
	v_mov_b32_dpp v41, v72 row_shr:4 row_mask:0xf bank_mask:0xf// 00000000F6E8: 7E5202FA FF011448
	v_mov_b32_dpp v42, v72 row_shl:4 row_mask:0xf bank_mask:0xf// 00000000F6F0: 7E5402FA FF010448
	v_cndmask_b32_e64 v252, v72, v41, s[44:45]                 // 00000000F6F8: D10000FC 00B25348
	v_cndmask_b32_e64 v253, v42, v72, s[44:45]                 // 00000000F700: D10000FD 00B2912A
	v_mov_b32_dpp v41, v252 row_shr:8 row_mask:0xf bank_mask:0xf// 00000000F708: 7E5202FA FF0118FC
	v_mov_b32_dpp v42, v252 row_shl:8 row_mask:0xf bank_mask:0xf// 00000000F710: 7E5402FA FF0108FC
	v_mov_b32_dpp v43, v253 row_shr:8 row_mask:0xf bank_mask:0xf// 00000000F718: 7E5602FA FF0118FD
	v_mov_b32_dpp v44, v253 row_shl:8 row_mask:0xf bank_mask:0xf// 00000000F720: 7E5802FA FF0108FD
	v_mov_b32_e32 v45, v252                                    // 00000000F728: 7E5A03FC
	v_mov_b32_e32 v46, v253                                    // 00000000F72C: 7E5C03FD
	v_cndmask_b32_e64 v252, v45, v41, s[42:43]                 // 00000000F730: D10000FC 00AA532D
	v_cndmask_b32_e64 v254, v45, v42, s[78:79]                 // 00000000F738: D10000FE 013A552D
	v_cndmask_b32_e64 v253, v46, v43, s[42:43]                 // 00000000F740: D10000FD 00AA572E
	v_cndmask_b32_e64 v255, v46, v44, s[78:79]                 // 00000000F748: D10000FF 013A592E
	v_cvt_f32_i32_e32 v128, v128                               // 00000000F750: 7F000B80
	v_cvt_f32_i32_e32 v129, v129                               // 00000000F754: 7F020B81
	v_cvt_f32_i32_e32 v130, v130                               // 00000000F758: 7F040B82
	v_cvt_f32_i32_e32 v131, v131                               // 00000000F75C: 7F060B83
	v_cvt_f32_i32_e32 v132, v132                               // 00000000F760: 7F080B84
	v_cvt_f32_i32_e32 v133, v133                               // 00000000F764: 7F0A0B85
	v_cvt_f32_i32_e32 v134, v134                               // 00000000F768: 7F0C0B86
	v_cvt_f32_i32_e32 v135, v135                               // 00000000F76C: 7F0E0B87
	v_cvt_f32_i32_e32 v136, v136                               // 00000000F770: 7F100B88
	v_cvt_f32_i32_e32 v137, v137                               // 00000000F774: 7F120B89
	v_cvt_f32_i32_e32 v138, v138                               // 00000000F778: 7F140B8A
	v_cvt_f32_i32_e32 v139, v139                               // 00000000F77C: 7F160B8B
	v_cvt_f32_i32_e32 v140, v140                               // 00000000F780: 7F180B8C
	v_cvt_f32_i32_e32 v141, v141                               // 00000000F784: 7F1A0B8D
	v_cvt_f32_i32_e32 v142, v142                               // 00000000F788: 7F1C0B8E
	v_cvt_f32_i32_e32 v143, v143                               // 00000000F78C: 7F1E0B8F
	v_mul_f32_e32 v128, v54, v128                              // 00000000F790: 0B010136
	v_mul_f32_e32 v129, v54, v129                              // 00000000F794: 0B030336
	v_mul_f32_e32 v130, v54, v130                              // 00000000F798: 0B050536
	v_mul_f32_e32 v131, v54, v131                              // 00000000F79C: 0B070736
	v_mul_f32_e32 v132, v54, v132                              // 00000000F7A0: 0B090936
	v_mul_f32_e32 v133, v54, v133                              // 00000000F7A4: 0B0B0B36
	v_mul_f32_e32 v134, v54, v134                              // 00000000F7A8: 0B0D0D36
	v_mul_f32_e32 v135, v54, v135                              // 00000000F7AC: 0B0F0F36
	v_mul_f32_e32 v136, v54, v136                              // 00000000F7B0: 0B111136
	v_mul_f32_e32 v137, v54, v137                              // 00000000F7B4: 0B131336
	v_mul_f32_e32 v138, v54, v138                              // 00000000F7B8: 0B151536
	v_mul_f32_e32 v139, v54, v139                              // 00000000F7BC: 0B171736
	v_mul_f32_e32 v140, v54, v140                              // 00000000F7C0: 0B191936
	v_mul_f32_e32 v141, v54, v141                              // 00000000F7C4: 0B1B1B36
	v_mul_f32_e32 v142, v54, v142                              // 00000000F7C8: 0B1D1D36
	v_mul_f32_e32 v143, v54, v143                              // 00000000F7CC: 0B1F1F36
	v_mul_f32_dpp v128, v248, v128 quad_perm:[0,0,0,0] row_mask:0xf bank_mask:0xf// 00000000F7D0: 0B0100FA FF0000F8
	v_mul_f32_dpp v129, v248, v129 quad_perm:[1,1,1,1] row_mask:0xf bank_mask:0xf// 00000000F7D8: 0B0302FA FF0055F8
	v_mul_f32_dpp v130, v248, v130 quad_perm:[2,2,2,2] row_mask:0xf bank_mask:0xf// 00000000F7E0: 0B0504FA FF00AAF8
	v_mul_f32_dpp v131, v248, v131 quad_perm:[3,3,3,3] row_mask:0xf bank_mask:0xf// 00000000F7E8: 0B0706FA FF00FFF8
	v_mul_f32_dpp v132, v249, v132 quad_perm:[0,0,0,0] row_mask:0xf bank_mask:0xf// 00000000F7F0: 0B0908FA FF0000F9
	v_mul_f32_dpp v133, v249, v133 quad_perm:[1,1,1,1] row_mask:0xf bank_mask:0xf// 00000000F7F8: 0B0B0AFA FF0055F9
	v_mul_f32_dpp v134, v249, v134 quad_perm:[2,2,2,2] row_mask:0xf bank_mask:0xf// 00000000F800: 0B0D0CFA FF00AAF9
	v_mul_f32_dpp v135, v249, v135 quad_perm:[3,3,3,3] row_mask:0xf bank_mask:0xf// 00000000F808: 0B0F0EFA FF00FFF9
	v_mul_f32_dpp v136, v250, v136 quad_perm:[0,0,0,0] row_mask:0xf bank_mask:0xf// 00000000F810: 0B1110FA FF0000FA
	v_mul_f32_dpp v137, v250, v137 quad_perm:[1,1,1,1] row_mask:0xf bank_mask:0xf// 00000000F818: 0B1312FA FF0055FA
	v_mul_f32_dpp v138, v250, v138 quad_perm:[2,2,2,2] row_mask:0xf bank_mask:0xf// 00000000F820: 0B1514FA FF00AAFA
	v_mul_f32_dpp v139, v250, v139 quad_perm:[3,3,3,3] row_mask:0xf bank_mask:0xf// 00000000F828: 0B1716FA FF00FFFA
	v_mul_f32_dpp v140, v251, v140 quad_perm:[0,0,0,0] row_mask:0xf bank_mask:0xf// 00000000F830: 0B1918FA FF0000FB
	v_mul_f32_dpp v141, v251, v141 quad_perm:[1,1,1,1] row_mask:0xf bank_mask:0xf// 00000000F838: 0B1B1AFA FF0055FB
	v_mul_f32_dpp v142, v251, v142 quad_perm:[2,2,2,2] row_mask:0xf bank_mask:0xf// 00000000F840: 0B1D1CFA FF00AAFB
	v_mul_f32_dpp v143, v251, v143 quad_perm:[3,3,3,3] row_mask:0xf bank_mask:0xf// 00000000F848: 0B1F1EFA FF00FFFB
	s_and_b32 s60, s72, 0xff                                   // 00000000F850: 863CFF48 000000FF
	v_mov_b32_e32 v42, s60                                     // 00000000F858: 7E54023C
	v_lshrrev_b32_e32 v240, 4, v0                              // 00000000F85C: 21E00084
	v_mul_i32_i24_e32 v240, 4, v240                            // 00000000F860: 0DE1E084
	s_mul_i32 s60, s7, 16                                      // 00000000F864: 923C9007
	v_add_u32_e32 v240, s60, v240                              // 00000000F868: 69E1E03C
	v_add_u32_e32 v241, 1, v240                                // 00000000F86C: 69E3E081
	v_add_u32_e32 v242, 2, v240                                // 00000000F870: 69E5E082
	v_add_u32_e32 v243, 3, v240                                // 00000000F874: 69E7E083
	v_mov_b32_e32 v41, 0xff800000                              // 00000000F878: 7E5202FF FF800000
	v_cmp_lt_u32_e64 s[40:41], v240, v42                       // 00000000F880: D0C90028 000255F0
	v_add_u32_e32 v240, 64, v240                               // 00000000F888: 69E1E0C0
	s_nop 0                                                    // 00000000F88C: BF800000
	v_cndmask_b32_e64 v128, v41, v128, s[40:41]                // 00000000F890: D1000080 00A30129
	v_cmp_lt_u32_e64 s[40:41], v241, v42                       // 00000000F898: D0C90028 000255F1
	v_add_u32_e32 v241, 64, v241                               // 00000000F8A0: 69E3E2C0
	s_nop 0                                                    // 00000000F8A4: BF800000
	v_cndmask_b32_e64 v129, v41, v129, s[40:41]                // 00000000F8A8: D1000081 00A30329
	v_cmp_lt_u32_e64 s[40:41], v242, v42                       // 00000000F8B0: D0C90028 000255F2
	v_add_u32_e32 v242, 64, v242                               // 00000000F8B8: 69E5E4C0
	s_nop 0                                                    // 00000000F8BC: BF800000
	v_cndmask_b32_e64 v130, v41, v130, s[40:41]                // 00000000F8C0: D1000082 00A30529
	v_cmp_lt_u32_e64 s[40:41], v243, v42                       // 00000000F8C8: D0C90028 000255F3
	v_add_u32_e32 v243, 64, v243                               // 00000000F8D0: 69E7E6C0
	s_nop 0                                                    // 00000000F8D4: BF800000
	v_cndmask_b32_e64 v131, v41, v131, s[40:41]                // 00000000F8D8: D1000083 00A30729
	v_cmp_lt_u32_e64 s[40:41], v240, v42                       // 00000000F8E0: D0C90028 000255F0
	v_add_u32_e32 v240, 64, v240                               // 00000000F8E8: 69E1E0C0
	s_nop 0                                                    // 00000000F8EC: BF800000
	v_cndmask_b32_e64 v132, v41, v132, s[40:41]                // 00000000F8F0: D1000084 00A30929
	v_cmp_lt_u32_e64 s[40:41], v241, v42                       // 00000000F8F8: D0C90028 000255F1
	v_add_u32_e32 v241, 64, v241                               // 00000000F900: 69E3E2C0
	s_nop 0                                                    // 00000000F904: BF800000
	v_cndmask_b32_e64 v133, v41, v133, s[40:41]                // 00000000F908: D1000085 00A30B29
	v_cmp_lt_u32_e64 s[40:41], v242, v42                       // 00000000F910: D0C90028 000255F2
	v_add_u32_e32 v242, 64, v242                               // 00000000F918: 69E5E4C0
	s_nop 0                                                    // 00000000F91C: BF800000
	v_cndmask_b32_e64 v134, v41, v134, s[40:41]                // 00000000F920: D1000086 00A30D29
	v_cmp_lt_u32_e64 s[40:41], v243, v42                       // 00000000F928: D0C90028 000255F3
	v_add_u32_e32 v243, 64, v243                               // 00000000F930: 69E7E6C0
	s_nop 0                                                    // 00000000F934: BF800000
	v_cndmask_b32_e64 v135, v41, v135, s[40:41]                // 00000000F938: D1000087 00A30F29
	v_cmp_lt_u32_e64 s[40:41], v240, v42                       // 00000000F940: D0C90028 000255F0
	v_add_u32_e32 v240, 64, v240                               // 00000000F948: 69E1E0C0
	s_nop 0                                                    // 00000000F94C: BF800000
	v_cndmask_b32_e64 v136, v41, v136, s[40:41]                // 00000000F950: D1000088 00A31129
	v_cmp_lt_u32_e64 s[40:41], v241, v42                       // 00000000F958: D0C90028 000255F1
	v_add_u32_e32 v241, 64, v241                               // 00000000F960: 69E3E2C0
	s_nop 0                                                    // 00000000F964: BF800000
	v_cndmask_b32_e64 v137, v41, v137, s[40:41]                // 00000000F968: D1000089 00A31329
	v_cmp_lt_u32_e64 s[40:41], v242, v42                       // 00000000F970: D0C90028 000255F2
	v_add_u32_e32 v242, 64, v242                               // 00000000F978: 69E5E4C0
	s_nop 0                                                    // 00000000F97C: BF800000
	v_cndmask_b32_e64 v138, v41, v138, s[40:41]                // 00000000F980: D100008A 00A31529
	v_cmp_lt_u32_e64 s[40:41], v243, v42                       // 00000000F988: D0C90028 000255F3
	v_add_u32_e32 v243, 64, v243                               // 00000000F990: 69E7E6C0
	s_nop 0                                                    // 00000000F994: BF800000
	v_cndmask_b32_e64 v139, v41, v139, s[40:41]                // 00000000F998: D100008B 00A31729
	v_cmp_lt_u32_e64 s[40:41], v240, v42                       // 00000000F9A0: D0C90028 000255F0
	v_add_u32_e32 v240, 64, v240                               // 00000000F9A8: 69E1E0C0
	s_nop 0                                                    // 00000000F9AC: BF800000
	v_cndmask_b32_e64 v140, v41, v140, s[40:41]                // 00000000F9B0: D100008C 00A31929
	v_cmp_lt_u32_e64 s[40:41], v241, v42                       // 00000000F9B8: D0C90028 000255F1
	v_add_u32_e32 v241, 64, v241                               // 00000000F9C0: 69E3E2C0
	s_nop 0                                                    // 00000000F9C4: BF800000
	v_cndmask_b32_e64 v141, v41, v141, s[40:41]                // 00000000F9C8: D100008D 00A31B29
	v_cmp_lt_u32_e64 s[40:41], v242, v42                       // 00000000F9D0: D0C90028 000255F2
	v_add_u32_e32 v242, 64, v242                               // 00000000F9D8: 69E5E4C0
	s_nop 0                                                    // 00000000F9DC: BF800000
	v_cndmask_b32_e64 v142, v41, v142, s[40:41]                // 00000000F9E0: D100008E 00A31D29
	v_cmp_lt_u32_e64 s[40:41], v243, v42                       // 00000000F9E8: D0C90028 000255F3
	v_add_u32_e32 v243, 64, v243                               // 00000000F9F0: 69E7E6C0
	s_nop 0                                                    // 00000000F9F4: BF800000
	v_cndmask_b32_e64 v143, v41, v143, s[40:41]                // 00000000F9F8: D100008F 00A31F29
	v_mov_b32_e32 v62, v128                                    // 00000000FA00: 7E7C0380
	v_max3_f32 v62, v128, v129, v62                            // 00000000FA04: D1D3003E 04FB0380
	v_max3_f32 v62, v130, v131, v62                            // 00000000FA0C: D1D3003E 04FB0782
	v_max3_f32 v62, v132, v133, v62                            // 00000000FA14: D1D3003E 04FB0B84
	v_max3_f32 v62, v134, v135, v62                            // 00000000FA1C: D1D3003E 04FB0F86
	v_max3_f32 v62, v136, v137, v62                            // 00000000FA24: D1D3003E 04FB1388
	v_max3_f32 v62, v138, v139, v62                            // 00000000FA2C: D1D3003E 04FB178A
	v_max3_f32 v62, v140, v141, v62                            // 00000000FA34: D1D3003E 04FB1B8C
	v_max3_f32 v62, v142, v143, v62                            // 00000000FA3C: D1D3003E 04FB1F8E
	ds_write_b32 v11, v62 offset:16896                         // 00000000FA44: D81A4200 00003E0B
	v_mul_u32_u24_dpp v41, v20, v68 row_newbcast:1 row_mask:0xf bank_mask:0xf// 00000000FA4C: 105288FA FF015114
	v_mul_u32_u24_dpp v42, v20, v68 row_newbcast:5 row_mask:0xf bank_mask:0xf// 00000000FA54: 105488FA FF015514
	v_mul_u32_u24_dpp v43, v20, v68 row_newbcast:9 row_mask:0xf bank_mask:0xf// 00000000FA5C: 105688FA FF015914
	v_mul_u32_u24_dpp v44, v20, v68 row_newbcast:13 row_mask:0xf bank_mask:0xf// 00000000FA64: 105888FA FF015D14
	v_add_u32_e32 v37, v41, v7                                 // 00000000FA6C: 684A0F29
	v_add_u32_e32 v38, v42, v7                                 // 00000000FA70: 684C0F2A
	v_add_u32_e32 v39, v43, v7                                 // 00000000FA74: 684E0F2B
	v_add_u32_e32 v40, v44, v7                                 // 00000000FA78: 68500F2C
	v_mul_f32_e32 v224, v63, v224                              // 00000000FA7C: 0BC1C13F
	v_mul_f32_e32 v225, v63, v225                              // 00000000FA80: 0BC3C33F
	v_mul_f32_e32 v226, v63, v226                              // 00000000FA84: 0BC5C53F
	v_mul_f32_e32 v227, v63, v227                              // 00000000FA88: 0BC7C73F
	v_mul_f32_e32 v228, v63, v228                              // 00000000FA8C: 0BC9C93F
	v_mul_f32_e32 v229, v63, v229                              // 00000000FA90: 0BCBCB3F
	v_mul_f32_e32 v230, v63, v230                              // 00000000FA94: 0BCDCD3F
	v_mul_f32_e32 v231, v63, v231                              // 00000000FA98: 0BCFCF3F
	s_waitcnt lgkmcnt(0)                                       // 00000000FA9C: BF8CC07F
	s_barrier                                                  // 00000000FAA0: BF8A0000
	ds_read_b32 v80, v10 offset:16896                          // 00000000FAA4: D86C4200 5000000A
	ds_read_b32 v81, v10 offset:16960                          // 00000000FAAC: D86C4240 5100000A
	ds_read_b32 v82, v10 offset:17024                          // 00000000FAB4: D86C4280 5200000A
	ds_read_b32 v83, v10 offset:17088                          // 00000000FABC: D86C42C0 5300000A
	ds_read_b32 v84, v10 offset:17152                          // 00000000FAC4: D86C4300 5400000A
	ds_read_b32 v85, v10 offset:17216                          // 00000000FACC: D86C4340 5500000A
	ds_read_b32 v86, v10 offset:17280                          // 00000000FAD4: D86C4380 5600000A
	ds_read_b32 v87, v10 offset:17344                          // 00000000FADC: D86C43C0 5700000A
	ds_read_b32 v88, v10 offset:17408                          // 00000000FAE4: D86C4400 5800000A
	ds_read_b32 v89, v10 offset:17472                          // 00000000FAEC: D86C4440 5900000A
	ds_read_b32 v90, v10 offset:17536                          // 00000000FAF4: D86C4480 5A00000A
	ds_read_b32 v91, v10 offset:17600                          // 00000000FAFC: D86C44C0 5B00000A
	ds_read_b32 v92, v10 offset:17664                          // 00000000FB04: D86C4500 5C00000A
	ds_read_b32 v93, v10 offset:17728                          // 00000000FB0C: D86C4540 5D00000A
	ds_read_b32 v94, v10 offset:17792                          // 00000000FB14: D86C4580 5E00000A
	ds_read_b32 v95, v10 offset:17856                          // 00000000FB1C: D86C45C0 5F00000A
	v_cvt_f32_i32_e32 v192, v192                               // 00000000FB24: 7F800BC0
	v_cvt_f32_i32_e32 v193, v193                               // 00000000FB28: 7F820BC1
	v_cvt_f32_i32_e32 v194, v194                               // 00000000FB2C: 7F840BC2
	v_cvt_f32_i32_e32 v195, v195                               // 00000000FB30: 7F860BC3
	v_cvt_f32_i32_e32 v196, v196                               // 00000000FB34: 7F880BC4
	v_cvt_f32_i32_e32 v197, v197                               // 00000000FB38: 7F8A0BC5
	v_cvt_f32_i32_e32 v198, v198                               // 00000000FB3C: 7F8C0BC6
	v_cvt_f32_i32_e32 v199, v199                               // 00000000FB40: 7F8E0BC7
	v_mul_f32_e32 v192, v58, v192                              // 00000000FB44: 0B81813A
	v_mul_f32_e32 v193, v58, v193                              // 00000000FB48: 0B83833A
	v_mul_f32_e32 v194, v58, v194                              // 00000000FB4C: 0B85853A
	v_mul_f32_e32 v195, v58, v195                              // 00000000FB50: 0B87873A
	v_mul_f32_e32 v196, v58, v196                              // 00000000FB54: 0B89893A
	v_mul_f32_e32 v197, v58, v197                              // 00000000FB58: 0B8B8B3A
	v_mul_f32_e32 v198, v58, v198                              // 00000000FB5C: 0B8D8D3A
	v_mul_f32_e32 v199, v58, v199                              // 00000000FB60: 0B8F8F3A
	s_waitcnt lgkmcnt(0)                                       // 00000000FB64: BF8CC07F
	v_max3_f32 v62, v80, v81, v62                              // 00000000FB68: D1D3003E 04FAA350
	v_max3_f32 v62, v82, v83, v62                              // 00000000FB70: D1D3003E 04FAA752
	v_max3_f32 v62, v84, v85, v62                              // 00000000FB78: D1D3003E 04FAAB54
	v_max3_f32 v62, v86, v87, v62                              // 00000000FB80: D1D3003E 04FAAF56
	v_max3_f32 v62, v88, v89, v62                              // 00000000FB88: D1D3003E 04FAB358
	v_max3_f32 v62, v90, v91, v62                              // 00000000FB90: D1D3003E 04FAB75A
	v_max3_f32 v62, v92, v93, v62                              // 00000000FB98: D1D3003E 04FABB5C
	v_max3_f32 v62, v94, v95, v62                              // 00000000FBA0: D1D3003E 04FABF5E
	v_mov_b32_e32 v41, 0xff800000                              // 00000000FBA8: 7E5202FF FF800000
	v_cmp_eq_u32_e64 s[40:41], v41, v14                        // 00000000FBB0: D0CA0028 00021D29
	s_nop 1                                                    // 00000000FBB8: BF800001
	v_max_f32_e32 v18, v62, v14                                // 00000000FBBC: 16241D3E
	v_mul_f32_e32 v67, s64, v18                                // 00000000FBC0: 0A862440
	v_fma_f32 v128, v128, s64, -v67                            // 00000000FBC4: D1CB0080 850C8180
	v_fma_f32 v129, v129, s64, -v67                            // 00000000FBCC: D1CB0081 850C8181
	v_fma_f32 v130, v130, s64, -v67                            // 00000000FBD4: D1CB0082 850C8182
	v_fma_f32 v131, v131, s64, -v67                            // 00000000FBDC: D1CB0083 850C8183
	v_fma_f32 v132, v132, s64, -v67                            // 00000000FBE4: D1CB0084 850C8184
	v_fma_f32 v133, v133, s64, -v67                            // 00000000FBEC: D1CB0085 850C8185
	v_fma_f32 v134, v134, s64, -v67                            // 00000000FBF4: D1CB0086 850C8186
	v_fma_f32 v135, v135, s64, -v67                            // 00000000FBFC: D1CB0087 850C8187
	v_fma_f32 v136, v136, s64, -v67                            // 00000000FC04: D1CB0088 850C8188
	v_fma_f32 v137, v137, s64, -v67                            // 00000000FC0C: D1CB0089 850C8189
	v_fma_f32 v138, v138, s64, -v67                            // 00000000FC14: D1CB008A 850C818A
	v_fma_f32 v139, v139, s64, -v67                            // 00000000FC1C: D1CB008B 850C818B
	v_fma_f32 v140, v140, s64, -v67                            // 00000000FC24: D1CB008C 850C818C
	v_fma_f32 v141, v141, s64, -v67                            // 00000000FC2C: D1CB008D 850C818D
	v_fma_f32 v142, v142, s64, -v67                            // 00000000FC34: D1CB008E 850C818E
	v_fma_f32 v143, v143, s64, -v67                            // 00000000FC3C: D1CB008F 850C818F
	v_exp_f32_e32 v128, v128                                   // 00000000FC44: 7F004180
	v_exp_f32_e32 v129, v129                                   // 00000000FC48: 7F024181
	v_exp_f32_e32 v130, v130                                   // 00000000FC4C: 7F044182
	v_exp_f32_e32 v131, v131                                   // 00000000FC50: 7F064183
	v_exp_f32_e32 v132, v132                                   // 00000000FC54: 7F084184
	v_exp_f32_e32 v133, v133                                   // 00000000FC58: 7F0A4185
	v_exp_f32_e32 v134, v134                                   // 00000000FC5C: 7F0C4186
	v_exp_f32_e32 v135, v135                                   // 00000000FC60: 7F0E4187
	v_exp_f32_e32 v136, v136                                   // 00000000FC64: 7F104188
	v_exp_f32_e32 v137, v137                                   // 00000000FC68: 7F124189
	v_exp_f32_e32 v138, v138                                   // 00000000FC6C: 7F14418A
	v_exp_f32_e32 v139, v139                                   // 00000000FC70: 7F16418B
	v_exp_f32_e32 v140, v140                                   // 00000000FC74: 7F18418C
	v_exp_f32_e32 v141, v141                                   // 00000000FC78: 7F1A418D
	v_exp_f32_e32 v142, v142                                   // 00000000FC7C: 7F1C418E
	v_exp_f32_e32 v143, v143                                   // 00000000FC80: 7F1E418F
	v_mul_f32_dpp v240, v252, v128 quad_perm:[0,0,0,0] row_mask:0xf bank_mask:0xf// 00000000FC84: 0BE100FA FF0000FC
	v_mul_f32_dpp v241, v252, v129 quad_perm:[1,1,1,1] row_mask:0xf bank_mask:0xf// 00000000FC8C: 0BE302FA FF0055FC
	v_mul_f32_dpp v242, v252, v130 quad_perm:[2,2,2,2] row_mask:0xf bank_mask:0xf// 00000000FC94: 0BE504FA FF00AAFC
	v_mul_f32_dpp v243, v252, v131 quad_perm:[3,3,3,3] row_mask:0xf bank_mask:0xf// 00000000FC9C: 0BE706FA FF00FFFC
	v_mul_f32_dpp v244, v253, v132 quad_perm:[0,0,0,0] row_mask:0xf bank_mask:0xf// 00000000FCA4: 0BE908FA FF0000FD
	v_mul_f32_dpp v245, v253, v133 quad_perm:[1,1,1,1] row_mask:0xf bank_mask:0xf// 00000000FCAC: 0BEB0AFA FF0055FD
	v_mul_f32_dpp v246, v253, v134 quad_perm:[2,2,2,2] row_mask:0xf bank_mask:0xf// 00000000FCB4: 0BED0CFA FF00AAFD
	v_mul_f32_dpp v247, v253, v135 quad_perm:[3,3,3,3] row_mask:0xf bank_mask:0xf// 00000000FCBC: 0BEF0EFA FF00FFFD
	v_mul_f32_dpp v248, v254, v136 quad_perm:[0,0,0,0] row_mask:0xf bank_mask:0xf// 00000000FCC4: 0BF110FA FF0000FE
	v_mul_f32_dpp v249, v254, v137 quad_perm:[1,1,1,1] row_mask:0xf bank_mask:0xf// 00000000FCCC: 0BF312FA FF0055FE
	v_mul_f32_dpp v250, v254, v138 quad_perm:[2,2,2,2] row_mask:0xf bank_mask:0xf// 00000000FCD4: 0BF514FA FF00AAFE
	v_mul_f32_dpp v251, v254, v139 quad_perm:[3,3,3,3] row_mask:0xf bank_mask:0xf// 00000000FCDC: 0BF716FA FF00FFFE
	v_mul_f32_dpp v252, v255, v140 quad_perm:[0,0,0,0] row_mask:0xf bank_mask:0xf// 00000000FCE4: 0BF918FA FF0000FF
	v_mul_f32_dpp v253, v255, v141 quad_perm:[1,1,1,1] row_mask:0xf bank_mask:0xf// 00000000FCEC: 0BFB1AFA FF0055FF
	v_mul_f32_dpp v254, v255, v142 quad_perm:[2,2,2,2] row_mask:0xf bank_mask:0xf// 00000000FCF4: 0BFD1CFA FF00AAFF
	v_mul_f32_dpp v255, v255, v143 quad_perm:[3,3,3,3] row_mask:0xf bank_mask:0xf// 00000000FCFC: 0BFF1EFA FF00FFFF
	v_mov_b32_e32 v62, 0x358637bd                              // 00000000FD04: 7E7C02FF 358637BD
	v_max3_f32 v62, |v240|, |v241|, v62                        // 00000000FD0C: D1D3033E 04FBE3F0
	v_max3_f32 v62, |v242|, |v243|, v62                        // 00000000FD14: D1D3033E 04FBE7F2
	v_max3_f32 v62, |v244|, |v245|, v62                        // 00000000FD1C: D1D3033E 04FBEBF4
	v_max3_f32 v62, |v246|, |v247|, v62                        // 00000000FD24: D1D3033E 04FBEFF6
	v_max3_f32 v62, |v248|, |v249|, v62                        // 00000000FD2C: D1D3033E 04FBF3F8
	v_max3_f32 v62, |v250|, |v251|, v62                        // 00000000FD34: D1D3033E 04FBF7FA
	v_max3_f32 v62, |v252|, |v253|, v62                        // 00000000FD3C: D1D3033E 04FBFBFC
	v_max3_f32 v62, |v254|, |v255|, v62                        // 00000000FD44: D1D3033E 04FBFFFE
	ds_write_b32 v11, v62 offset:20992                         // 00000000FD4C: D81A5200 00003E0B
	v_sub_f32_e32 v63, v14, v18                                // 00000000FD54: 047E250E
	v_cndmask_b32_e64 v63, v63, 0, s[40:41]                    // 00000000FD58: D100003F 00A1013F
	v_mov_b32_e32 v14, v18                                     // 00000000FD60: 7E1C0312
	v_mul_f32_e32 v63, s64, v63                                // 00000000FD64: 0A7E7E40
	v_exp_f32_e32 v63, v63                                     // 00000000FD68: 7E7E413F
	s_waitcnt lgkmcnt(0)                                       // 00000000FD6C: BF8CC07F
	s_barrier                                                  // 00000000FD70: BF8A0000
	ds_read_b32 v80, v10 offset:20992                          // 00000000FD74: D86C5200 5000000A
	ds_read_b32 v81, v10 offset:21056                          // 00000000FD7C: D86C5240 5100000A
	ds_read_b32 v82, v10 offset:21120                          // 00000000FD84: D86C5280 5200000A
	ds_read_b32 v83, v10 offset:21184                          // 00000000FD8C: D86C52C0 5300000A
	ds_read_b32 v84, v10 offset:21248                          // 00000000FD94: D86C5300 5400000A
	ds_read_b32 v85, v10 offset:21312                          // 00000000FD9C: D86C5340 5500000A
	ds_read_b32 v86, v10 offset:21376                          // 00000000FDA4: D86C5380 5600000A
	ds_read_b32 v87, v10 offset:21440                          // 00000000FDAC: D86C53C0 5700000A
	ds_read_b32 v88, v10 offset:21504                          // 00000000FDB4: D86C5400 5800000A
	ds_read_b32 v89, v10 offset:21568                          // 00000000FDBC: D86C5440 5900000A
	ds_read_b32 v90, v10 offset:21632                          // 00000000FDC4: D86C5480 5A00000A
	ds_read_b32 v91, v10 offset:21696                          // 00000000FDCC: D86C54C0 5B00000A
	ds_read_b32 v92, v10 offset:21760                          // 00000000FDD4: D86C5500 5C00000A
	ds_read_b32 v93, v10 offset:21824                          // 00000000FDDC: D86C5540 5D00000A
	ds_read_b32 v94, v10 offset:21888                          // 00000000FDE4: D86C5580 5E00000A
	ds_read_b32 v95, v10 offset:21952                          // 00000000FDEC: D86C55C0 5F00000A
	v_mul_f32_e32 v47, v63, v47                                // 00000000FDF4: 0A5E5F3F
	v_mov_b32_e32 v18, v128                                    // 00000000FDF8: 7E240380
	v_add_f32_e32 v18, v129, v18                               // 00000000FDFC: 02242581
	v_add_f32_e32 v18, v130, v18                               // 00000000FE00: 02242582
	v_add_f32_e32 v18, v131, v18                               // 00000000FE04: 02242583
	v_add_f32_e32 v18, v132, v18                               // 00000000FE08: 02242584
	v_add_f32_e32 v18, v133, v18                               // 00000000FE0C: 02242585
	v_add_f32_e32 v18, v134, v18                               // 00000000FE10: 02242586
	v_add_f32_e32 v18, v135, v18                               // 00000000FE14: 02242587
	v_add_f32_e32 v18, v136, v18                               // 00000000FE18: 02242588
	v_add_f32_e32 v18, v137, v18                               // 00000000FE1C: 02242589
	v_add_f32_e32 v18, v138, v18                               // 00000000FE20: 0224258A
	v_add_f32_e32 v18, v139, v18                               // 00000000FE24: 0224258B
	v_add_f32_e32 v18, v140, v18                               // 00000000FE28: 0224258C
	v_add_f32_e32 v18, v141, v18                               // 00000000FE2C: 0224258D
	v_add_f32_e32 v18, v142, v18                               // 00000000FE30: 0224258E
	v_add_f32_e32 v18, v143, v18                               // 00000000FE34: 0224258F
	v_add_f32_e32 v47, v18, v47                                // 00000000FE38: 025E5F12
	s_waitcnt lgkmcnt(0)                                       // 00000000FE3C: BF8CC07F
	v_max3_f32 v62, |v80|, |v81|, v62                          // 00000000FE40: D1D3033E 04FAA350
	v_max3_f32 v62, |v82|, |v83|, v62                          // 00000000FE48: D1D3033E 04FAA752
	v_max3_f32 v62, |v84|, |v85|, v62                          // 00000000FE50: D1D3033E 04FAAB54
	v_max3_f32 v62, |v86|, |v87|, v62                          // 00000000FE58: D1D3033E 04FAAF56
	v_max3_f32 v62, |v88|, |v89|, v62                          // 00000000FE60: D1D3033E 04FAB358
	v_max3_f32 v62, |v90|, |v91|, v62                          // 00000000FE68: D1D3033E 04FAB75A
	v_max3_f32 v62, |v92|, |v93|, v62                          // 00000000FE70: D1D3033E 04FABB5C
	v_max3_f32 v62, |v94|, |v95|, v62                          // 00000000FE78: D1D3033E 04FABF5E
	s_nop 2                                                    // 00000000FE80: BF800002
	v_rcp_f32_e32 v62, v62                                     // 00000000FE84: 7E7C453E
	s_nop 1                                                    // 00000000FE88: BF800001
	v_mul_f32_e32 v62, 0x42fe0000, v62                         // 00000000FE8C: 0A7C7CFF 42FE0000
	v_mul_f32_e32 v128, v62, v240                              // 00000000FE94: 0B01E13E
	v_mul_f32_e32 v129, v62, v241                              // 00000000FE98: 0B03E33E
	v_mul_f32_e32 v130, v62, v242                              // 00000000FE9C: 0B05E53E
	v_mul_f32_e32 v131, v62, v243                              // 00000000FEA0: 0B07E73E
	v_mul_f32_e32 v132, v62, v244                              // 00000000FEA4: 0B09E93E
	v_mul_f32_e32 v133, v62, v245                              // 00000000FEA8: 0B0BEB3E
	v_mul_f32_e32 v134, v62, v246                              // 00000000FEAC: 0B0DED3E
	v_mul_f32_e32 v135, v62, v247                              // 00000000FEB0: 0B0FEF3E
	v_mul_f32_e32 v136, v62, v248                              // 00000000FEB4: 0B11F13E
	v_mul_f32_e32 v137, v62, v249                              // 00000000FEB8: 0B13F33E
	v_mul_f32_e32 v138, v62, v250                              // 00000000FEBC: 0B15F53E
	v_mul_f32_e32 v139, v62, v251                              // 00000000FEC0: 0B17F73E
	v_mul_f32_e32 v140, v62, v252                              // 00000000FEC4: 0B19F93E
	v_mul_f32_e32 v141, v62, v253                              // 00000000FEC8: 0B1BFB3E
	v_mul_f32_e32 v142, v62, v254                              // 00000000FECC: 0B1DFD3E
	v_mul_f32_e32 v143, v62, v255                              // 00000000FED0: 0B1FFF3E
	v_cvt_i32_f32_e32 v128, v128                               // 00000000FED4: 7F001180
	v_cvt_i32_f32_e32 v129, v129                               // 00000000FED8: 7F021181
	v_cvt_i32_f32_e32 v130, v130                               // 00000000FEDC: 7F041182
	v_cvt_i32_f32_e32 v131, v131                               // 00000000FEE0: 7F061183
	v_cvt_i32_f32_e32 v132, v132                               // 00000000FEE4: 7F081184
	v_cvt_i32_f32_e32 v133, v133                               // 00000000FEE8: 7F0A1185
	v_cvt_i32_f32_e32 v134, v134                               // 00000000FEEC: 7F0C1186
	v_cvt_i32_f32_e32 v135, v135                               // 00000000FEF0: 7F0E1187
	v_cvt_i32_f32_e32 v136, v136                               // 00000000FEF4: 7F101188
	v_cvt_i32_f32_e32 v137, v137                               // 00000000FEF8: 7F121189
	v_cvt_i32_f32_e32 v138, v138                               // 00000000FEFC: 7F14118A
	v_cvt_i32_f32_e32 v139, v139                               // 00000000FF00: 7F16118B
	v_cvt_i32_f32_e32 v140, v140                               // 00000000FF04: 7F18118C
	v_cvt_i32_f32_e32 v141, v141                               // 00000000FF08: 7F1A118D
	v_cvt_i32_f32_e32 v142, v142                               // 00000000FF0C: 7F1C118E
	v_cvt_i32_f32_e32 v143, v143                               // 00000000FF10: 7F1E118F
	v_perm_b32 v128, v129, v128, s53                           // 00000000FF14: D1ED0080 00D70181
	v_perm_b32 v128, v130, v128, s54                           // 00000000FF1C: D1ED0080 00DB0182
	v_perm_b32 v128, v131, v128, s55                           // 00000000FF24: D1ED0080 00DF0183
	v_perm_b32 v129, v133, v132, s53                           // 00000000FF2C: D1ED0081 00D70985
	v_perm_b32 v129, v134, v129, s54                           // 00000000FF34: D1ED0081 00DB0386
	v_perm_b32 v129, v135, v129, s55                           // 00000000FF3C: D1ED0081 00DF0387
	v_perm_b32 v130, v137, v136, s53                           // 00000000FF44: D1ED0082 00D71189
	v_perm_b32 v130, v138, v130, s54                           // 00000000FF4C: D1ED0082 00DB058A
	v_perm_b32 v130, v139, v130, s55                           // 00000000FF54: D1ED0082 00DF058B
	v_perm_b32 v131, v141, v140, s53                           // 00000000FF5C: D1ED0083 00D7198D
	v_perm_b32 v131, v142, v131, s54                           // 00000000FF64: D1ED0083 00DB078E
	v_perm_b32 v131, v143, v131, s55                           // 00000000FF6C: D1ED0083 00DF078F
	ds_write_b32 v13, v128 offset:25088                        // 00000000FF74: D81A6200 0000800D
	ds_write_b32 v13, v129 offset:26112                        // 00000000FF7C: D81A6600 0000810D
	ds_write_b32 v13, v130 offset:27136                        // 00000000FF84: D81A6A00 0000820D
	ds_write_b32 v13, v131 offset:28160                        // 00000000FF8C: D81A6E00 0000830D
	v_add_f32_e32 v224, v224, v192                             // 00000000FF94: 03C181E0
	v_add_f32_e32 v225, v225, v193                             // 00000000FF98: 03C383E1
	v_add_f32_e32 v226, v226, v194                             // 00000000FF9C: 03C585E2
	v_add_f32_e32 v227, v227, v195                             // 00000000FFA0: 03C787E3
	v_add_f32_e32 v228, v228, v196                             // 00000000FFA4: 03C989E4
	v_add_f32_e32 v229, v229, v197                             // 00000000FFA8: 03CB8BE5
	v_add_f32_e32 v230, v230, v198                             // 00000000FFAC: 03CD8DE6
	v_add_f32_e32 v231, v231, v199                             // 00000000FFB0: 03CF8FE7
	v_rcp_f32_e32 v58, v62                                     // 00000000FFB4: 7E74453E
	s_waitcnt lgkmcnt(0)                                       // 00000000FFB8: BF8CC07F
	s_barrier                                                  // 00000000FFBC: BF8A0000
	ds_read_b64 v[128:129], v12 offset:25088                   // 00000000FFC0: D8EC6200 8000000C
	ds_read_b64 v[130:131], v12 offset:25216                   // 00000000FFC8: D8EC6280 8200000C
	ds_read_b64 v[132:133], v12 offset:26112                   // 00000000FFD0: D8EC6600 8400000C
	ds_read_b64 v[134:135], v12 offset:26240                   // 00000000FFD8: D8EC6680 8600000C
	ds_read_b64 v[136:137], v12 offset:27136                   // 00000000FFE0: D8EC6A00 8800000C
	ds_read_b64 v[138:139], v12 offset:27264                   // 00000000FFE8: D8EC6A80 8A00000C
	ds_read_b64 v[140:141], v12 offset:28160                   // 00000000FFF0: D8EC6E00 8C00000C
	ds_read_b64 v[142:143], v12 offset:28288                   // 00000000FFF8: D8EC6E80 8E00000C
	v_mov_b32_dpp v41, v52 row_shr:4 row_mask:0xf bank_mask:0xf// 000000010000: 7E5202FA FF011434
	v_mov_b32_dpp v42, v52 row_shl:4 row_mask:0xf bank_mask:0xf// 000000010008: 7E5402FA FF010434
	v_cndmask_b32_e64 v248, v52, v41, s[44:45]                 // 000000010010: D10000F8 00B25334
	v_cndmask_b32_e64 v249, v42, v52, s[44:45]                 // 000000010018: D10000F9 00B2692A
	v_mov_b32_dpp v41, v248 row_shr:8 row_mask:0xf bank_mask:0xf// 000000010020: 7E5202FA FF0118F8
	v_mov_b32_dpp v42, v248 row_shl:8 row_mask:0xf bank_mask:0xf// 000000010028: 7E5402FA FF0108F8
	v_mov_b32_dpp v43, v249 row_shr:8 row_mask:0xf bank_mask:0xf// 000000010030: 7E5602FA FF0118F9
	v_mov_b32_dpp v44, v249 row_shl:8 row_mask:0xf bank_mask:0xf// 000000010038: 7E5802FA FF0108F9
	v_mov_b32_e32 v45, v248                                    // 000000010040: 7E5A03F8
	v_mov_b32_e32 v46, v249                                    // 000000010044: 7E5C03F9
	v_cndmask_b32_e64 v248, v45, v41, s[42:43]                 // 000000010048: D10000F8 00AA532D
	v_cndmask_b32_e64 v250, v45, v42, s[78:79]                 // 000000010050: D10000FA 013A552D
	v_cndmask_b32_e64 v249, v46, v43, s[42:43]                 // 000000010058: D10000F9 00AA572E
	v_cndmask_b32_e64 v251, v46, v44, s[78:79]                 // 000000010060: D10000FB 013A592E
	v_mov_b32_dpp v41, v72 row_shr:4 row_mask:0xf bank_mask:0xf// 000000010068: 7E5202FA FF011448
	v_mov_b32_dpp v42, v72 row_shl:4 row_mask:0xf bank_mask:0xf// 000000010070: 7E5402FA FF010448
	v_cndmask_b32_e64 v252, v72, v41, s[44:45]                 // 000000010078: D10000FC 00B25348
	v_cndmask_b32_e64 v253, v42, v72, s[44:45]                 // 000000010080: D10000FD 00B2912A
	v_mov_b32_dpp v41, v252 row_shr:8 row_mask:0xf bank_mask:0xf// 000000010088: 7E5202FA FF0118FC
	v_mov_b32_dpp v42, v252 row_shl:8 row_mask:0xf bank_mask:0xf// 000000010090: 7E5402FA FF0108FC
	v_mov_b32_dpp v43, v253 row_shr:8 row_mask:0xf bank_mask:0xf// 000000010098: 7E5602FA FF0118FD
	v_mov_b32_dpp v44, v253 row_shl:8 row_mask:0xf bank_mask:0xf// 0000000100A0: 7E5802FA FF0108FD
	v_mov_b32_e32 v45, v252                                    // 0000000100A8: 7E5A03FC
	v_mov_b32_e32 v46, v253                                    // 0000000100AC: 7E5C03FD
	v_cndmask_b32_e64 v252, v45, v41, s[42:43]                 // 0000000100B0: D10000FC 00AA532D
	v_cndmask_b32_e64 v254, v45, v42, s[78:79]                 // 0000000100B8: D10000FE 013A552D
	v_cndmask_b32_e64 v253, v46, v43, s[42:43]                 // 0000000100C0: D10000FD 00AA572E
	v_cndmask_b32_e64 v255, v46, v44, s[78:79]                 // 0000000100C8: D10000FF 013A592E
	v_cvt_f32_i32_e32 v144, v144                               // 0000000100D0: 7F200B90
	v_cvt_f32_i32_e32 v145, v145                               // 0000000100D4: 7F220B91
	v_cvt_f32_i32_e32 v146, v146                               // 0000000100D8: 7F240B92
	v_cvt_f32_i32_e32 v147, v147                               // 0000000100DC: 7F260B93
	v_cvt_f32_i32_e32 v148, v148                               // 0000000100E0: 7F280B94
	v_cvt_f32_i32_e32 v149, v149                               // 0000000100E4: 7F2A0B95
	v_cvt_f32_i32_e32 v150, v150                               // 0000000100E8: 7F2C0B96
	v_cvt_f32_i32_e32 v151, v151                               // 0000000100EC: 7F2E0B97
	v_cvt_f32_i32_e32 v152, v152                               // 0000000100F0: 7F300B98
	v_cvt_f32_i32_e32 v153, v153                               // 0000000100F4: 7F320B99
	v_cvt_f32_i32_e32 v154, v154                               // 0000000100F8: 7F340B9A
	v_cvt_f32_i32_e32 v155, v155                               // 0000000100FC: 7F360B9B
	v_cvt_f32_i32_e32 v156, v156                               // 000000010100: 7F380B9C
	v_cvt_f32_i32_e32 v157, v157                               // 000000010104: 7F3A0B9D
	v_cvt_f32_i32_e32 v158, v158                               // 000000010108: 7F3C0B9E
	v_cvt_f32_i32_e32 v159, v159                               // 00000001010C: 7F3E0B9F
	v_mul_f32_e32 v144, v55, v144                              // 000000010110: 0B212137
	v_mul_f32_e32 v145, v55, v145                              // 000000010114: 0B232337
	v_mul_f32_e32 v146, v55, v146                              // 000000010118: 0B252537
	v_mul_f32_e32 v147, v55, v147                              // 00000001011C: 0B272737
	v_mul_f32_e32 v148, v55, v148                              // 000000010120: 0B292937
	v_mul_f32_e32 v149, v55, v149                              // 000000010124: 0B2B2B37
	v_mul_f32_e32 v150, v55, v150                              // 000000010128: 0B2D2D37
	v_mul_f32_e32 v151, v55, v151                              // 00000001012C: 0B2F2F37
	v_mul_f32_e32 v152, v55, v152                              // 000000010130: 0B313137
	v_mul_f32_e32 v153, v55, v153                              // 000000010134: 0B333337
	v_mul_f32_e32 v154, v55, v154                              // 000000010138: 0B353537
	v_mul_f32_e32 v155, v55, v155                              // 00000001013C: 0B373737
	v_mul_f32_e32 v156, v55, v156                              // 000000010140: 0B393937
	v_mul_f32_e32 v157, v55, v157                              // 000000010144: 0B3B3B37
	v_mul_f32_e32 v158, v55, v158                              // 000000010148: 0B3D3D37
	v_mul_f32_e32 v159, v55, v159                              // 00000001014C: 0B3F3F37
	v_mul_f32_dpp v144, v248, v144 quad_perm:[0,0,0,0] row_mask:0xf bank_mask:0xf// 000000010150: 0B2120FA FF0000F8
	v_mul_f32_dpp v145, v248, v145 quad_perm:[1,1,1,1] row_mask:0xf bank_mask:0xf// 000000010158: 0B2322FA FF0055F8
	v_mul_f32_dpp v146, v248, v146 quad_perm:[2,2,2,2] row_mask:0xf bank_mask:0xf// 000000010160: 0B2524FA FF00AAF8
	v_mul_f32_dpp v147, v248, v147 quad_perm:[3,3,3,3] row_mask:0xf bank_mask:0xf// 000000010168: 0B2726FA FF00FFF8
	v_mul_f32_dpp v148, v249, v148 quad_perm:[0,0,0,0] row_mask:0xf bank_mask:0xf// 000000010170: 0B2928FA FF0000F9
	v_mul_f32_dpp v149, v249, v149 quad_perm:[1,1,1,1] row_mask:0xf bank_mask:0xf// 000000010178: 0B2B2AFA FF0055F9
	v_mul_f32_dpp v150, v249, v150 quad_perm:[2,2,2,2] row_mask:0xf bank_mask:0xf// 000000010180: 0B2D2CFA FF00AAF9
	v_mul_f32_dpp v151, v249, v151 quad_perm:[3,3,3,3] row_mask:0xf bank_mask:0xf// 000000010188: 0B2F2EFA FF00FFF9
	v_mul_f32_dpp v152, v250, v152 quad_perm:[0,0,0,0] row_mask:0xf bank_mask:0xf// 000000010190: 0B3130FA FF0000FA
	v_mul_f32_dpp v153, v250, v153 quad_perm:[1,1,1,1] row_mask:0xf bank_mask:0xf// 000000010198: 0B3332FA FF0055FA
	v_mul_f32_dpp v154, v250, v154 quad_perm:[2,2,2,2] row_mask:0xf bank_mask:0xf// 0000000101A0: 0B3534FA FF00AAFA
	v_mul_f32_dpp v155, v250, v155 quad_perm:[3,3,3,3] row_mask:0xf bank_mask:0xf// 0000000101A8: 0B3736FA FF00FFFA
	v_mul_f32_dpp v156, v251, v156 quad_perm:[0,0,0,0] row_mask:0xf bank_mask:0xf// 0000000101B0: 0B3938FA FF0000FB
	v_mul_f32_dpp v157, v251, v157 quad_perm:[1,1,1,1] row_mask:0xf bank_mask:0xf// 0000000101B8: 0B3B3AFA FF0055FB
	v_mul_f32_dpp v158, v251, v158 quad_perm:[2,2,2,2] row_mask:0xf bank_mask:0xf// 0000000101C0: 0B3D3CFA FF00AAFB
	v_mul_f32_dpp v159, v251, v159 quad_perm:[3,3,3,3] row_mask:0xf bank_mask:0xf// 0000000101C8: 0B3F3EFA FF00FFFB
	s_and_b32 s60, s72, 0xff                                   // 0000000101D0: 863CFF48 000000FF
	v_mov_b32_e32 v42, s60                                     // 0000000101D8: 7E54023C
	v_lshrrev_b32_e32 v240, 4, v0                              // 0000000101DC: 21E00084
	v_mul_i32_i24_e32 v240, 4, v240                            // 0000000101E0: 0DE1E084
	s_mul_i32 s60, s7, 16                                      // 0000000101E4: 923C9007
	v_add_u32_e32 v240, s60, v240                              // 0000000101E8: 69E1E03C
	v_add_u32_e32 v241, 1, v240                                // 0000000101EC: 69E3E081
	v_add_u32_e32 v242, 2, v240                                // 0000000101F0: 69E5E082
	v_add_u32_e32 v243, 3, v240                                // 0000000101F4: 69E7E083
	v_mov_b32_e32 v41, 0xff800000                              // 0000000101F8: 7E5202FF FF800000
	v_cmp_lt_u32_e64 s[40:41], v240, v42                       // 000000010200: D0C90028 000255F0
	v_add_u32_e32 v240, 64, v240                               // 000000010208: 69E1E0C0
	s_nop 0                                                    // 00000001020C: BF800000
	v_cndmask_b32_e64 v144, v41, v144, s[40:41]                // 000000010210: D1000090 00A32129
	v_cmp_lt_u32_e64 s[40:41], v241, v42                       // 000000010218: D0C90028 000255F1
	v_add_u32_e32 v241, 64, v241                               // 000000010220: 69E3E2C0
	s_nop 0                                                    // 000000010224: BF800000
	v_cndmask_b32_e64 v145, v41, v145, s[40:41]                // 000000010228: D1000091 00A32329
	v_cmp_lt_u32_e64 s[40:41], v242, v42                       // 000000010230: D0C90028 000255F2
	v_add_u32_e32 v242, 64, v242                               // 000000010238: 69E5E4C0
	s_nop 0                                                    // 00000001023C: BF800000
	v_cndmask_b32_e64 v146, v41, v146, s[40:41]                // 000000010240: D1000092 00A32529
	v_cmp_lt_u32_e64 s[40:41], v243, v42                       // 000000010248: D0C90028 000255F3
	v_add_u32_e32 v243, 64, v243                               // 000000010250: 69E7E6C0
	s_nop 0                                                    // 000000010254: BF800000
	v_cndmask_b32_e64 v147, v41, v147, s[40:41]                // 000000010258: D1000093 00A32729
	v_cmp_lt_u32_e64 s[40:41], v240, v42                       // 000000010260: D0C90028 000255F0
	v_add_u32_e32 v240, 64, v240                               // 000000010268: 69E1E0C0
	s_nop 0                                                    // 00000001026C: BF800000
	v_cndmask_b32_e64 v148, v41, v148, s[40:41]                // 000000010270: D1000094 00A32929
	v_cmp_lt_u32_e64 s[40:41], v241, v42                       // 000000010278: D0C90028 000255F1
	v_add_u32_e32 v241, 64, v241                               // 000000010280: 69E3E2C0
	s_nop 0                                                    // 000000010284: BF800000
	v_cndmask_b32_e64 v149, v41, v149, s[40:41]                // 000000010288: D1000095 00A32B29
	v_cmp_lt_u32_e64 s[40:41], v242, v42                       // 000000010290: D0C90028 000255F2
	v_add_u32_e32 v242, 64, v242                               // 000000010298: 69E5E4C0
	s_nop 0                                                    // 00000001029C: BF800000
	v_cndmask_b32_e64 v150, v41, v150, s[40:41]                // 0000000102A0: D1000096 00A32D29
	v_cmp_lt_u32_e64 s[40:41], v243, v42                       // 0000000102A8: D0C90028 000255F3
	v_add_u32_e32 v243, 64, v243                               // 0000000102B0: 69E7E6C0
	s_nop 0                                                    // 0000000102B4: BF800000
	v_cndmask_b32_e64 v151, v41, v151, s[40:41]                // 0000000102B8: D1000097 00A32F29
	v_cmp_lt_u32_e64 s[40:41], v240, v42                       // 0000000102C0: D0C90028 000255F0
	v_add_u32_e32 v240, 64, v240                               // 0000000102C8: 69E1E0C0
	s_nop 0                                                    // 0000000102CC: BF800000
	v_cndmask_b32_e64 v152, v41, v152, s[40:41]                // 0000000102D0: D1000098 00A33129
	v_cmp_lt_u32_e64 s[40:41], v241, v42                       // 0000000102D8: D0C90028 000255F1
	v_add_u32_e32 v241, 64, v241                               // 0000000102E0: 69E3E2C0
	s_nop 0                                                    // 0000000102E4: BF800000
	v_cndmask_b32_e64 v153, v41, v153, s[40:41]                // 0000000102E8: D1000099 00A33329
	v_cmp_lt_u32_e64 s[40:41], v242, v42                       // 0000000102F0: D0C90028 000255F2
	v_add_u32_e32 v242, 64, v242                               // 0000000102F8: 69E5E4C0
	s_nop 0                                                    // 0000000102FC: BF800000
	v_cndmask_b32_e64 v154, v41, v154, s[40:41]                // 000000010300: D100009A 00A33529
	v_cmp_lt_u32_e64 s[40:41], v243, v42                       // 000000010308: D0C90028 000255F3
	v_add_u32_e32 v243, 64, v243                               // 000000010310: 69E7E6C0
	s_nop 0                                                    // 000000010314: BF800000
	v_cndmask_b32_e64 v155, v41, v155, s[40:41]                // 000000010318: D100009B 00A33729
	v_cmp_lt_u32_e64 s[40:41], v240, v42                       // 000000010320: D0C90028 000255F0
	v_add_u32_e32 v240, 64, v240                               // 000000010328: 69E1E0C0
	s_nop 0                                                    // 00000001032C: BF800000
	v_cndmask_b32_e64 v156, v41, v156, s[40:41]                // 000000010330: D100009C 00A33929
	v_cmp_lt_u32_e64 s[40:41], v241, v42                       // 000000010338: D0C90028 000255F1
	v_add_u32_e32 v241, 64, v241                               // 000000010340: 69E3E2C0
	s_nop 0                                                    // 000000010344: BF800000
	v_cndmask_b32_e64 v157, v41, v157, s[40:41]                // 000000010348: D100009D 00A33B29
	v_cmp_lt_u32_e64 s[40:41], v242, v42                       // 000000010350: D0C90028 000255F2
	v_add_u32_e32 v242, 64, v242                               // 000000010358: 69E5E4C0
	s_nop 0                                                    // 00000001035C: BF800000
	v_cndmask_b32_e64 v158, v41, v158, s[40:41]                // 000000010360: D100009E 00A33D29
	v_cmp_lt_u32_e64 s[40:41], v243, v42                       // 000000010368: D0C90028 000255F3
	v_add_u32_e32 v243, 64, v243                               // 000000010370: 69E7E6C0
	s_nop 0                                                    // 000000010374: BF800000
	v_cndmask_b32_e64 v159, v41, v159, s[40:41]                // 000000010378: D100009F 00A33F29
	v_mov_b32_e32 v62, v144                                    // 000000010380: 7E7C0390
	v_max3_f32 v62, v144, v145, v62                            // 000000010384: D1D3003E 04FB2390
	v_max3_f32 v62, v146, v147, v62                            // 00000001038C: D1D3003E 04FB2792
	v_max3_f32 v62, v148, v149, v62                            // 000000010394: D1D3003E 04FB2B94
	v_max3_f32 v62, v150, v151, v62                            // 00000001039C: D1D3003E 04FB2F96
	v_max3_f32 v62, v152, v153, v62                            // 0000000103A4: D1D3003E 04FB3398
	v_max3_f32 v62, v154, v155, v62                            // 0000000103AC: D1D3003E 04FB379A
	v_max3_f32 v62, v156, v157, v62                            // 0000000103B4: D1D3003E 04FB3B9C
	v_max3_f32 v62, v158, v159, v62                            // 0000000103BC: D1D3003E 04FB3F9E
	ds_write_b32 v11, v62 offset:16896                         // 0000000103C4: D81A4200 00003E0B
	v_mul_f32_e32 v232, v64, v232                              // 0000000103CC: 0BD1D140
	v_mul_f32_e32 v233, v64, v233                              // 0000000103D0: 0BD3D340
	v_mul_f32_e32 v234, v64, v234                              // 0000000103D4: 0BD5D540
	v_mul_f32_e32 v235, v64, v235                              // 0000000103D8: 0BD7D740
	v_mul_f32_e32 v236, v64, v236                              // 0000000103DC: 0BD9D940
	v_mul_f32_e32 v237, v64, v237                              // 0000000103E0: 0BDBDB40
	v_mul_f32_e32 v238, v64, v238                              // 0000000103E4: 0BDDDD40
	v_mul_f32_e32 v239, v64, v239                              // 0000000103E8: 0BDFDF40
	s_waitcnt lgkmcnt(0)                                       // 0000000103EC: BF8CC07F
	s_barrier                                                  // 0000000103F0: BF8A0000
	ds_read_b32 v80, v10 offset:16896                          // 0000000103F4: D86C4200 5000000A
	ds_read_b32 v81, v10 offset:16960                          // 0000000103FC: D86C4240 5100000A
	ds_read_b32 v82, v10 offset:17024                          // 000000010404: D86C4280 5200000A
	ds_read_b32 v83, v10 offset:17088                          // 00000001040C: D86C42C0 5300000A
	ds_read_b32 v84, v10 offset:17152                          // 000000010414: D86C4300 5400000A
	ds_read_b32 v85, v10 offset:17216                          // 00000001041C: D86C4340 5500000A
	ds_read_b32 v86, v10 offset:17280                          // 000000010424: D86C4380 5600000A
	ds_read_b32 v87, v10 offset:17344                          // 00000001042C: D86C43C0 5700000A
	ds_read_b32 v88, v10 offset:17408                          // 000000010434: D86C4400 5800000A
	ds_read_b32 v89, v10 offset:17472                          // 00000001043C: D86C4440 5900000A
	ds_read_b32 v90, v10 offset:17536                          // 000000010444: D86C4480 5A00000A
	ds_read_b32 v91, v10 offset:17600                          // 00000001044C: D86C44C0 5B00000A
	ds_read_b32 v92, v10 offset:17664                          // 000000010454: D86C4500 5C00000A
	ds_read_b32 v93, v10 offset:17728                          // 00000001045C: D86C4540 5D00000A
	ds_read_b32 v94, v10 offset:17792                          // 000000010464: D86C4580 5E00000A
	ds_read_b32 v95, v10 offset:17856                          // 00000001046C: D86C45C0 5F00000A
	v_cvt_f32_i32_e32 v200, v200                               // 000000010474: 7F900BC8
	v_cvt_f32_i32_e32 v201, v201                               // 000000010478: 7F920BC9
	v_cvt_f32_i32_e32 v202, v202                               // 00000001047C: 7F940BCA
	v_cvt_f32_i32_e32 v203, v203                               // 000000010480: 7F960BCB
	v_cvt_f32_i32_e32 v204, v204                               // 000000010484: 7F980BCC
	v_cvt_f32_i32_e32 v205, v205                               // 000000010488: 7F9A0BCD
	v_cvt_f32_i32_e32 v206, v206                               // 00000001048C: 7F9C0BCE
	v_cvt_f32_i32_e32 v207, v207                               // 000000010490: 7F9E0BCF
	v_mul_f32_e32 v200, v59, v200                              // 000000010494: 0B91913B
	v_mul_f32_e32 v201, v59, v201                              // 000000010498: 0B93933B
	v_mul_f32_e32 v202, v59, v202                              // 00000001049C: 0B95953B
	v_mul_f32_e32 v203, v59, v203                              // 0000000104A0: 0B97973B
	v_mul_f32_e32 v204, v59, v204                              // 0000000104A4: 0B99993B
	v_mul_f32_e32 v205, v59, v205                              // 0000000104A8: 0B9B9B3B
	v_mul_f32_e32 v206, v59, v206                              // 0000000104AC: 0B9D9D3B
	v_mul_f32_e32 v207, v59, v207                              // 0000000104B0: 0B9F9F3B
	s_waitcnt lgkmcnt(0)                                       // 0000000104B4: BF8CC07F
	v_max3_f32 v62, v80, v81, v62                              // 0000000104B8: D1D3003E 04FAA350
	v_max3_f32 v62, v82, v83, v62                              // 0000000104C0: D1D3003E 04FAA752
	v_max3_f32 v62, v84, v85, v62                              // 0000000104C8: D1D3003E 04FAAB54
	v_max3_f32 v62, v86, v87, v62                              // 0000000104D0: D1D3003E 04FAAF56
	v_max3_f32 v62, v88, v89, v62                              // 0000000104D8: D1D3003E 04FAB358
	v_max3_f32 v62, v90, v91, v62                              // 0000000104E0: D1D3003E 04FAB75A
	v_max3_f32 v62, v92, v93, v62                              // 0000000104E8: D1D3003E 04FABB5C
	v_max3_f32 v62, v94, v95, v62                              // 0000000104F0: D1D3003E 04FABF5E
	v_mov_b32_e32 v41, 0xff800000                              // 0000000104F8: 7E5202FF FF800000
	v_cmp_eq_u32_e64 s[40:41], v41, v15                        // 000000010500: D0CA0028 00021F29
	s_nop 1                                                    // 000000010508: BF800001
	v_max_f32_e32 v18, v62, v15                                // 00000001050C: 16241F3E
	v_mul_f32_e32 v67, s64, v18                                // 000000010510: 0A862440
	v_fma_f32 v144, v144, s64, -v67                            // 000000010514: D1CB0090 850C8190
	v_fma_f32 v145, v145, s64, -v67                            // 00000001051C: D1CB0091 850C8191
	v_fma_f32 v146, v146, s64, -v67                            // 000000010524: D1CB0092 850C8192
	v_fma_f32 v147, v147, s64, -v67                            // 00000001052C: D1CB0093 850C8193
	v_fma_f32 v148, v148, s64, -v67                            // 000000010534: D1CB0094 850C8194
	v_fma_f32 v149, v149, s64, -v67                            // 00000001053C: D1CB0095 850C8195
	v_fma_f32 v150, v150, s64, -v67                            // 000000010544: D1CB0096 850C8196
	v_fma_f32 v151, v151, s64, -v67                            // 00000001054C: D1CB0097 850C8197
	v_fma_f32 v152, v152, s64, -v67                            // 000000010554: D1CB0098 850C8198
	v_fma_f32 v153, v153, s64, -v67                            // 00000001055C: D1CB0099 850C8199
	v_fma_f32 v154, v154, s64, -v67                            // 000000010564: D1CB009A 850C819A
	v_fma_f32 v155, v155, s64, -v67                            // 00000001056C: D1CB009B 850C819B
	v_fma_f32 v156, v156, s64, -v67                            // 000000010574: D1CB009C 850C819C
	v_fma_f32 v157, v157, s64, -v67                            // 00000001057C: D1CB009D 850C819D
	v_fma_f32 v158, v158, s64, -v67                            // 000000010584: D1CB009E 850C819E
	v_fma_f32 v159, v159, s64, -v67                            // 00000001058C: D1CB009F 850C819F
	v_exp_f32_e32 v144, v144                                   // 000000010594: 7F204190
	v_exp_f32_e32 v145, v145                                   // 000000010598: 7F224191
	v_exp_f32_e32 v146, v146                                   // 00000001059C: 7F244192
	v_exp_f32_e32 v147, v147                                   // 0000000105A0: 7F264193
	v_exp_f32_e32 v148, v148                                   // 0000000105A4: 7F284194
	v_exp_f32_e32 v149, v149                                   // 0000000105A8: 7F2A4195
	v_exp_f32_e32 v150, v150                                   // 0000000105AC: 7F2C4196
	v_exp_f32_e32 v151, v151                                   // 0000000105B0: 7F2E4197
	v_exp_f32_e32 v152, v152                                   // 0000000105B4: 7F304198
	v_exp_f32_e32 v153, v153                                   // 0000000105B8: 7F324199
	v_exp_f32_e32 v154, v154                                   // 0000000105BC: 7F34419A
	v_exp_f32_e32 v155, v155                                   // 0000000105C0: 7F36419B
	v_exp_f32_e32 v156, v156                                   // 0000000105C4: 7F38419C
	v_exp_f32_e32 v157, v157                                   // 0000000105C8: 7F3A419D
	v_exp_f32_e32 v158, v158                                   // 0000000105CC: 7F3C419E
	v_exp_f32_e32 v159, v159                                   // 0000000105D0: 7F3E419F
	v_mul_f32_dpp v240, v252, v144 quad_perm:[0,0,0,0] row_mask:0xf bank_mask:0xf// 0000000105D4: 0BE120FA FF0000FC
	v_mul_f32_dpp v241, v252, v145 quad_perm:[1,1,1,1] row_mask:0xf bank_mask:0xf// 0000000105DC: 0BE322FA FF0055FC
	v_mul_f32_dpp v242, v252, v146 quad_perm:[2,2,2,2] row_mask:0xf bank_mask:0xf// 0000000105E4: 0BE524FA FF00AAFC
	v_mul_f32_dpp v243, v252, v147 quad_perm:[3,3,3,3] row_mask:0xf bank_mask:0xf// 0000000105EC: 0BE726FA FF00FFFC
	v_mul_f32_dpp v244, v253, v148 quad_perm:[0,0,0,0] row_mask:0xf bank_mask:0xf// 0000000105F4: 0BE928FA FF0000FD
	v_mul_f32_dpp v245, v253, v149 quad_perm:[1,1,1,1] row_mask:0xf bank_mask:0xf// 0000000105FC: 0BEB2AFA FF0055FD
	v_mul_f32_dpp v246, v253, v150 quad_perm:[2,2,2,2] row_mask:0xf bank_mask:0xf// 000000010604: 0BED2CFA FF00AAFD
	v_mul_f32_dpp v247, v253, v151 quad_perm:[3,3,3,3] row_mask:0xf bank_mask:0xf// 00000001060C: 0BEF2EFA FF00FFFD
	v_mul_f32_dpp v248, v254, v152 quad_perm:[0,0,0,0] row_mask:0xf bank_mask:0xf// 000000010614: 0BF130FA FF0000FE
	v_mul_f32_dpp v249, v254, v153 quad_perm:[1,1,1,1] row_mask:0xf bank_mask:0xf// 00000001061C: 0BF332FA FF0055FE
	v_mul_f32_dpp v250, v254, v154 quad_perm:[2,2,2,2] row_mask:0xf bank_mask:0xf// 000000010624: 0BF534FA FF00AAFE
	v_mul_f32_dpp v251, v254, v155 quad_perm:[3,3,3,3] row_mask:0xf bank_mask:0xf// 00000001062C: 0BF736FA FF00FFFE
	v_mul_f32_dpp v252, v255, v156 quad_perm:[0,0,0,0] row_mask:0xf bank_mask:0xf// 000000010634: 0BF938FA FF0000FF
	v_mul_f32_dpp v253, v255, v157 quad_perm:[1,1,1,1] row_mask:0xf bank_mask:0xf// 00000001063C: 0BFB3AFA FF0055FF
	v_mul_f32_dpp v254, v255, v158 quad_perm:[2,2,2,2] row_mask:0xf bank_mask:0xf// 000000010644: 0BFD3CFA FF00AAFF
	v_mul_f32_dpp v255, v255, v159 quad_perm:[3,3,3,3] row_mask:0xf bank_mask:0xf// 00000001064C: 0BFF3EFA FF00FFFF
	v_mov_b32_e32 v62, 0x358637bd                              // 000000010654: 7E7C02FF 358637BD
	v_max3_f32 v62, |v240|, |v241|, v62                        // 00000001065C: D1D3033E 04FBE3F0
	v_max3_f32 v62, |v242|, |v243|, v62                        // 000000010664: D1D3033E 04FBE7F2
	v_max3_f32 v62, |v244|, |v245|, v62                        // 00000001066C: D1D3033E 04FBEBF4
	v_max3_f32 v62, |v246|, |v247|, v62                        // 000000010674: D1D3033E 04FBEFF6
	v_max3_f32 v62, |v248|, |v249|, v62                        // 00000001067C: D1D3033E 04FBF3F8
	v_max3_f32 v62, |v250|, |v251|, v62                        // 000000010684: D1D3033E 04FBF7FA
	v_max3_f32 v62, |v252|, |v253|, v62                        // 00000001068C: D1D3033E 04FBFBFC
	v_max3_f32 v62, |v254|, |v255|, v62                        // 000000010694: D1D3033E 04FBFFFE
	ds_write_b32 v11, v62 offset:20992                         // 00000001069C: D81A5200 00003E0B
	v_sub_f32_e32 v64, v15, v18                                // 0000000106A4: 0480250F
	v_cndmask_b32_e64 v64, v64, 0, s[40:41]                    // 0000000106A8: D1000040 00A10140
	v_mov_b32_e32 v15, v18                                     // 0000000106B0: 7E1E0312
	v_mul_f32_e32 v64, s64, v64                                // 0000000106B4: 0A808040
	v_exp_f32_e32 v64, v64                                     // 0000000106B8: 7E804140
	s_waitcnt lgkmcnt(0)                                       // 0000000106BC: BF8CC07F
	s_barrier                                                  // 0000000106C0: BF8A0000
	ds_read_b32 v80, v10 offset:20992                          // 0000000106C4: D86C5200 5000000A
	ds_read_b32 v81, v10 offset:21056                          // 0000000106CC: D86C5240 5100000A
	ds_read_b32 v82, v10 offset:21120                          // 0000000106D4: D86C5280 5200000A
	ds_read_b32 v83, v10 offset:21184                          // 0000000106DC: D86C52C0 5300000A
	ds_read_b32 v84, v10 offset:21248                          // 0000000106E4: D86C5300 5400000A
	ds_read_b32 v85, v10 offset:21312                          // 0000000106EC: D86C5340 5500000A
	ds_read_b32 v86, v10 offset:21376                          // 0000000106F4: D86C5380 5600000A
	ds_read_b32 v87, v10 offset:21440                          // 0000000106FC: D86C53C0 5700000A
	ds_read_b32 v88, v10 offset:21504                          // 000000010704: D86C5400 5800000A
	ds_read_b32 v89, v10 offset:21568                          // 00000001070C: D86C5440 5900000A
	ds_read_b32 v90, v10 offset:21632                          // 000000010714: D86C5480 5A00000A
	ds_read_b32 v91, v10 offset:21696                          // 00000001071C: D86C54C0 5B00000A
	ds_read_b32 v92, v10 offset:21760                          // 000000010724: D86C5500 5C00000A
	ds_read_b32 v93, v10 offset:21824                          // 00000001072C: D86C5540 5D00000A
	ds_read_b32 v94, v10 offset:21888                          // 000000010734: D86C5580 5E00000A
	ds_read_b32 v95, v10 offset:21952                          // 00000001073C: D86C55C0 5F00000A
	v_mul_f32_e32 v48, v64, v48                                // 000000010744: 0A606140
	v_mov_b32_e32 v18, v144                                    // 000000010748: 7E240390
	v_add_f32_e32 v18, v145, v18                               // 00000001074C: 02242591
	v_add_f32_e32 v18, v146, v18                               // 000000010750: 02242592
	v_add_f32_e32 v18, v147, v18                               // 000000010754: 02242593
	;; [unrolled: 1-line block ×3, first 2 shown]
	v_add_f32_e32 v18, v149, v18                               // 00000001075C: 02242595
	v_add_f32_e32 v18, v150, v18                               // 000000010760: 02242596
	v_add_f32_e32 v18, v151, v18                               // 000000010764: 02242597
	;; [unrolled: 1-line block ×3, first 2 shown]
	v_add_f32_e32 v18, v153, v18                               // 00000001076C: 02242599
	v_add_f32_e32 v18, v154, v18                               // 000000010770: 0224259A
	v_add_f32_e32 v18, v155, v18                               // 000000010774: 0224259B
	v_add_f32_e32 v18, v156, v18                               // 000000010778: 0224259C
	v_add_f32_e32 v18, v157, v18                               // 00000001077C: 0224259D
	v_add_f32_e32 v18, v158, v18                               // 000000010780: 0224259E
	v_add_f32_e32 v18, v159, v18                               // 000000010784: 0224259F
	v_add_f32_e32 v48, v18, v48                                // 000000010788: 02606112
	s_waitcnt lgkmcnt(0)                                       // 00000001078C: BF8CC07F
	v_max3_f32 v62, |v80|, |v81|, v62                          // 000000010790: D1D3033E 04FAA350
	v_max3_f32 v62, |v82|, |v83|, v62                          // 000000010798: D1D3033E 04FAA752
	v_max3_f32 v62, |v84|, |v85|, v62                          // 0000000107A0: D1D3033E 04FAAB54
	v_max3_f32 v62, |v86|, |v87|, v62                          // 0000000107A8: D1D3033E 04FAAF56
	v_max3_f32 v62, |v88|, |v89|, v62                          // 0000000107B0: D1D3033E 04FAB358
	v_max3_f32 v62, |v90|, |v91|, v62                          // 0000000107B8: D1D3033E 04FAB75A
	v_max3_f32 v62, |v92|, |v93|, v62                          // 0000000107C0: D1D3033E 04FABB5C
	v_max3_f32 v62, |v94|, |v95|, v62                          // 0000000107C8: D1D3033E 04FABF5E
	s_nop 2                                                    // 0000000107D0: BF800002
	v_rcp_f32_e32 v62, v62                                     // 0000000107D4: 7E7C453E
	s_nop 1                                                    // 0000000107D8: BF800001
	v_mul_f32_e32 v62, 0x42fe0000, v62                         // 0000000107DC: 0A7C7CFF 42FE0000
	v_mul_f32_e32 v144, v62, v240                              // 0000000107E4: 0B21E13E
	v_mul_f32_e32 v145, v62, v241                              // 0000000107E8: 0B23E33E
	v_mul_f32_e32 v146, v62, v242                              // 0000000107EC: 0B25E53E
	v_mul_f32_e32 v147, v62, v243                              // 0000000107F0: 0B27E73E
	v_mul_f32_e32 v148, v62, v244                              // 0000000107F4: 0B29E93E
	v_mul_f32_e32 v149, v62, v245                              // 0000000107F8: 0B2BEB3E
	v_mul_f32_e32 v150, v62, v246                              // 0000000107FC: 0B2DED3E
	v_mul_f32_e32 v151, v62, v247                              // 000000010800: 0B2FEF3E
	v_mul_f32_e32 v152, v62, v248                              // 000000010804: 0B31F13E
	v_mul_f32_e32 v153, v62, v249                              // 000000010808: 0B33F33E
	v_mul_f32_e32 v154, v62, v250                              // 00000001080C: 0B35F53E
	v_mul_f32_e32 v155, v62, v251                              // 000000010810: 0B37F73E
	v_mul_f32_e32 v156, v62, v252                              // 000000010814: 0B39F93E
	v_mul_f32_e32 v157, v62, v253                              // 000000010818: 0B3BFB3E
	v_mul_f32_e32 v158, v62, v254                              // 00000001081C: 0B3DFD3E
	v_mul_f32_e32 v159, v62, v255                              // 000000010820: 0B3FFF3E
	v_cvt_i32_f32_e32 v144, v144                               // 000000010824: 7F201190
	v_cvt_i32_f32_e32 v145, v145                               // 000000010828: 7F221191
	v_cvt_i32_f32_e32 v146, v146                               // 00000001082C: 7F241192
	v_cvt_i32_f32_e32 v147, v147                               // 000000010830: 7F261193
	v_cvt_i32_f32_e32 v148, v148                               // 000000010834: 7F281194
	v_cvt_i32_f32_e32 v149, v149                               // 000000010838: 7F2A1195
	v_cvt_i32_f32_e32 v150, v150                               // 00000001083C: 7F2C1196
	v_cvt_i32_f32_e32 v151, v151                               // 000000010840: 7F2E1197
	v_cvt_i32_f32_e32 v152, v152                               // 000000010844: 7F301198
	v_cvt_i32_f32_e32 v153, v153                               // 000000010848: 7F321199
	v_cvt_i32_f32_e32 v154, v154                               // 00000001084C: 7F34119A
	v_cvt_i32_f32_e32 v155, v155                               // 000000010850: 7F36119B
	v_cvt_i32_f32_e32 v156, v156                               // 000000010854: 7F38119C
	v_cvt_i32_f32_e32 v157, v157                               // 000000010858: 7F3A119D
	v_cvt_i32_f32_e32 v158, v158                               // 00000001085C: 7F3C119E
	v_cvt_i32_f32_e32 v159, v159                               // 000000010860: 7F3E119F
	v_perm_b32 v144, v145, v144, s53                           // 000000010864: D1ED0090 00D72191
	v_perm_b32 v144, v146, v144, s54                           // 00000001086C: D1ED0090 00DB2192
	v_perm_b32 v144, v147, v144, s55                           // 000000010874: D1ED0090 00DF2193
	v_perm_b32 v145, v149, v148, s53                           // 00000001087C: D1ED0091 00D72995
	v_perm_b32 v145, v150, v145, s54                           // 000000010884: D1ED0091 00DB2396
	v_perm_b32 v145, v151, v145, s55                           // 00000001088C: D1ED0091 00DF2397
	v_perm_b32 v146, v153, v152, s53                           // 000000010894: D1ED0092 00D73199
	v_perm_b32 v146, v154, v146, s54                           // 00000001089C: D1ED0092 00DB259A
	v_perm_b32 v146, v155, v146, s55                           // 0000000108A4: D1ED0092 00DF259B
	v_perm_b32 v147, v157, v156, s53                           // 0000000108AC: D1ED0093 00D7399D
	v_perm_b32 v147, v158, v147, s54                           // 0000000108B4: D1ED0093 00DB279E
	v_perm_b32 v147, v159, v147, s55                           // 0000000108BC: D1ED0093 00DF279F
	ds_write_b32 v13, v144 offset:29184                        // 0000000108C4: D81A7200 0000900D
	ds_write_b32 v13, v145 offset:30208                        // 0000000108CC: D81A7600 0000910D
	ds_write_b32 v13, v146 offset:31232                        // 0000000108D4: D81A7A00 0000920D
	ds_write_b32 v13, v147 offset:32256                        // 0000000108DC: D81A7E00 0000930D
	v_add_f32_e32 v232, v232, v200                             // 0000000108E4: 03D191E8
	v_add_f32_e32 v233, v233, v201                             // 0000000108E8: 03D393E9
	v_add_f32_e32 v234, v234, v202                             // 0000000108EC: 03D595EA
	v_add_f32_e32 v235, v235, v203                             // 0000000108F0: 03D797EB
	v_add_f32_e32 v236, v236, v204                             // 0000000108F4: 03D999EC
	v_add_f32_e32 v237, v237, v205                             // 0000000108F8: 03DB9BED
	v_add_f32_e32 v238, v238, v206                             // 0000000108FC: 03DD9DEE
	v_add_f32_e32 v239, v239, v207                             // 000000010900: 03DF9FEF
	v_rcp_f32_e32 v59, v62                                     // 000000010904: 7E76453E
	s_waitcnt lgkmcnt(0)                                       // 000000010908: BF8CC07F
	s_barrier                                                  // 00000001090C: BF8A0000
	ds_read_b64 v[144:145], v12 offset:29184                   // 000000010910: D8EC7200 9000000C
	ds_read_b64 v[146:147], v12 offset:29312                   // 000000010918: D8EC7280 9200000C
	ds_read_b64 v[148:149], v12 offset:30208                   // 000000010920: D8EC7600 9400000C
	ds_read_b64 v[150:151], v12 offset:30336                   // 000000010928: D8EC7680 9600000C
	ds_read_b64 v[152:153], v12 offset:31232                   // 000000010930: D8EC7A00 9800000C
	ds_read_b64 v[154:155], v12 offset:31360                   // 000000010938: D8EC7A80 9A00000C
	ds_read_b64 v[156:157], v12 offset:32256                   // 000000010940: D8EC7E00 9C00000C
	ds_read_b64 v[158:159], v12 offset:32384                   // 000000010948: D8EC7E80 9E00000C
	s_waitcnt vmcnt(0)                                         // 000000010950: BF8C0F70
	s_barrier                                                  // 000000010954: BF8A0000
	v_mfma_i32_16x16x32_i8 v[192:195], a[64:65], v[128:129], 0 // 000000010958: D3D700C0 0A030140
	v_mfma_i32_16x16x32_i8 v[192:195], a[66:67], v[130:131], v[192:195]// 000000010960: D3D700C0 0F030542
	v_mfma_i32_16x16x32_i8 v[192:195], a[68:69], v[132:133], v[192:195]// 000000010968: D3D700C0 0F030944
	v_mfma_i32_16x16x32_i8 v[192:195], a[70:71], v[134:135], v[192:195]// 000000010970: D3D700C0 0F030D46
	v_mfma_i32_16x16x32_i8 v[192:195], a[72:73], v[136:137], v[192:195]// 000000010978: D3D700C0 0F031148
	v_mfma_i32_16x16x32_i8 v[192:195], a[74:75], v[138:139], v[192:195]// 000000010980: D3D700C0 0F03154A
	v_mfma_i32_16x16x32_i8 v[192:195], a[76:77], v[140:141], v[192:195]// 000000010988: D3D700C0 0F03194C
	v_mfma_i32_16x16x32_i8 v[192:195], a[78:79], v[142:143], v[192:195]// 000000010990: D3D700C0 0F031D4E
	v_mfma_i32_16x16x32_i8 v[196:199], a[80:81], v[128:129], 0 // 000000010998: D3D700C4 0A030150
	v_mfma_i32_16x16x32_i8 v[196:199], a[82:83], v[130:131], v[196:199]// 0000000109A0: D3D700C4 0F130552
	v_mfma_i32_16x16x32_i8 v[196:199], a[84:85], v[132:133], v[196:199]// 0000000109A8: D3D700C4 0F130954
	v_mfma_i32_16x16x32_i8 v[196:199], a[86:87], v[134:135], v[196:199]// 0000000109B0: D3D700C4 0F130D56
	v_mfma_i32_16x16x32_i8 v[196:199], a[88:89], v[136:137], v[196:199]// 0000000109B8: D3D700C4 0F131158
	v_mfma_i32_16x16x32_i8 v[196:199], a[90:91], v[138:139], v[196:199]// 0000000109C0: D3D700C4 0F13155A
	v_mfma_i32_16x16x32_i8 v[196:199], a[92:93], v[140:141], v[196:199]// 0000000109C8: D3D700C4 0F13195C
	v_mfma_i32_16x16x32_i8 v[196:199], a[94:95], v[142:143], v[196:199]// 0000000109D0: D3D700C4 0F131D5E
	v_mfma_i32_16x16x32_i8 v[200:203], a[64:65], v[144:145], 0 // 0000000109D8: D3D700C8 0A032140
	v_mfma_i32_16x16x32_i8 v[200:203], a[66:67], v[146:147], v[200:203]// 0000000109E0: D3D700C8 0F232542
	v_mfma_i32_16x16x32_i8 v[200:203], a[68:69], v[148:149], v[200:203]// 0000000109E8: D3D700C8 0F232944
	v_mfma_i32_16x16x32_i8 v[200:203], a[70:71], v[150:151], v[200:203]// 0000000109F0: D3D700C8 0F232D46
	v_mfma_i32_16x16x32_i8 v[200:203], a[72:73], v[152:153], v[200:203]// 0000000109F8: D3D700C8 0F233148
	v_mfma_i32_16x16x32_i8 v[200:203], a[74:75], v[154:155], v[200:203]// 000000010A00: D3D700C8 0F23354A
	v_mfma_i32_16x16x32_i8 v[200:203], a[76:77], v[156:157], v[200:203]// 000000010A08: D3D700C8 0F23394C
	v_mfma_i32_16x16x32_i8 v[200:203], a[78:79], v[158:159], v[200:203]// 000000010A10: D3D700C8 0F233D4E
	v_mfma_i32_16x16x32_i8 v[204:207], a[80:81], v[144:145], 0 // 000000010A18: D3D700CC 0A032150
	v_mfma_i32_16x16x32_i8 v[204:207], a[82:83], v[146:147], v[204:207]// 000000010A20: D3D700CC 0F332552
	v_mfma_i32_16x16x32_i8 v[204:207], a[84:85], v[148:149], v[204:207]// 000000010A28: D3D700CC 0F332954
	v_mfma_i32_16x16x32_i8 v[204:207], a[86:87], v[150:151], v[204:207]// 000000010A30: D3D700CC 0F332D56
	v_mfma_i32_16x16x32_i8 v[204:207], a[88:89], v[152:153], v[204:207]// 000000010A38: D3D700CC 0F333158
	v_mfma_i32_16x16x32_i8 v[204:207], a[90:91], v[154:155], v[204:207]// 000000010A40: D3D700CC 0F33355A
	v_mfma_i32_16x16x32_i8 v[204:207], a[92:93], v[156:157], v[204:207]// 000000010A48: D3D700CC 0F33395C
	v_mfma_i32_16x16x32_i8 v[204:207], a[94:95], v[158:159], v[204:207]// 000000010A50: D3D700CC 0F333D5E
	s_nop 4                                                    // 000000010A58: BF800004
	s_branch label_3F52                                        // 000000010A5C: BF82053A

0000000000010a60 <label_3A18>:
	s_waitcnt vmcnt(8) lgkmcnt(0)                              // 000000010A60: BF8C0078
	s_barrier                                                  // 000000010A64: BF8A0000
	v_mfma_i32_16x16x32_i8 v[128:131], a[32:33], v[96:97], 0   // 000000010A68: D3D70080 0A02C120
	v_mfma_i32_16x16x32_i8 v[128:131], a[34:35], v[98:99], v[128:131]// 000000010A70: D3D70080 0E02C522
	v_mfma_i32_16x16x32_i8 v[128:131], a[36:37], v[100:101], v[128:131]// 000000010A78: D3D70080 0E02C924
	v_mfma_i32_16x16x32_i8 v[128:131], a[38:39], v[102:103], v[128:131]// 000000010A80: D3D70080 0E02CD26
	v_mfma_i32_16x16x32_i8 v[132:135], a[40:41], v[96:97], 0   // 000000010A88: D3D70084 0A02C128
	v_mfma_i32_16x16x32_i8 v[132:135], a[42:43], v[98:99], v[132:135]// 000000010A90: D3D70084 0E12C52A
	v_mfma_i32_16x16x32_i8 v[132:135], a[44:45], v[100:101], v[132:135]// 000000010A98: D3D70084 0E12C92C
	v_mfma_i32_16x16x32_i8 v[132:135], a[46:47], v[102:103], v[132:135]// 000000010AA0: D3D70084 0E12CD2E
	v_mfma_i32_16x16x32_i8 v[136:139], a[48:49], v[96:97], 0   // 000000010AA8: D3D70088 0A02C130
	v_mfma_i32_16x16x32_i8 v[136:139], a[50:51], v[98:99], v[136:139]// 000000010AB0: D3D70088 0E22C532
	v_mfma_i32_16x16x32_i8 v[136:139], a[52:53], v[100:101], v[136:139]// 000000010AB8: D3D70088 0E22C934
	v_mfma_i32_16x16x32_i8 v[136:139], a[54:55], v[102:103], v[136:139]// 000000010AC0: D3D70088 0E22CD36
	v_mfma_i32_16x16x32_i8 v[140:143], a[56:57], v[96:97], 0   // 000000010AC8: D3D7008C 0A02C138
	v_mfma_i32_16x16x32_i8 v[140:143], a[58:59], v[98:99], v[140:143]// 000000010AD0: D3D7008C 0E32C53A
	v_mfma_i32_16x16x32_i8 v[140:143], a[60:61], v[100:101], v[140:143]// 000000010AD8: D3D7008C 0E32C93C
	v_mfma_i32_16x16x32_i8 v[140:143], a[62:63], v[102:103], v[140:143]// 000000010AE0: D3D7008C 0E32CD3E
	v_mfma_i32_16x16x32_i8 v[144:147], a[32:33], v[104:105], 0 // 000000010AE8: D3D70090 0A02D120
	v_mfma_i32_16x16x32_i8 v[144:147], a[34:35], v[106:107], v[144:147]// 000000010AF0: D3D70090 0E42D522
	v_mfma_i32_16x16x32_i8 v[144:147], a[36:37], v[108:109], v[144:147]// 000000010AF8: D3D70090 0E42D924
	v_mfma_i32_16x16x32_i8 v[144:147], a[38:39], v[110:111], v[144:147]// 000000010B00: D3D70090 0E42DD26
	v_mfma_i32_16x16x32_i8 v[148:151], a[40:41], v[104:105], 0 // 000000010B08: D3D70094 0A02D128
	v_mfma_i32_16x16x32_i8 v[148:151], a[42:43], v[106:107], v[148:151]// 000000010B10: D3D70094 0E52D52A
	v_mfma_i32_16x16x32_i8 v[148:151], a[44:45], v[108:109], v[148:151]// 000000010B18: D3D70094 0E52D92C
	v_mfma_i32_16x16x32_i8 v[148:151], a[46:47], v[110:111], v[148:151]// 000000010B20: D3D70094 0E52DD2E
	v_mfma_i32_16x16x32_i8 v[152:155], a[48:49], v[104:105], 0 // 000000010B28: D3D70098 0A02D130
	v_mfma_i32_16x16x32_i8 v[152:155], a[50:51], v[106:107], v[152:155]// 000000010B30: D3D70098 0E62D532
	v_mfma_i32_16x16x32_i8 v[152:155], a[52:53], v[108:109], v[152:155]// 000000010B38: D3D70098 0E62D934
	v_mfma_i32_16x16x32_i8 v[152:155], a[54:55], v[110:111], v[152:155]// 000000010B40: D3D70098 0E62DD36
	v_mfma_i32_16x16x32_i8 v[156:159], a[56:57], v[104:105], 0 // 000000010B48: D3D7009C 0A02D138
	v_mfma_i32_16x16x32_i8 v[156:159], a[58:59], v[106:107], v[156:159]// 000000010B50: D3D7009C 0E72D53A
	v_mfma_i32_16x16x32_i8 v[156:159], a[60:61], v[108:109], v[156:159]// 000000010B58: D3D7009C 0E72D93C
	v_mfma_i32_16x16x32_i8 v[156:159], a[62:63], v[110:111], v[156:159]// 000000010B60: D3D7009C 0E72DD3E
	v_mov_b32_dpp v41, v53 row_shr:4 row_mask:0xf bank_mask:0xf// 000000010B68: 7E5202FA FF011435
	v_mov_b32_dpp v42, v53 row_shl:4 row_mask:0xf bank_mask:0xf// 000000010B70: 7E5402FA FF010435
	v_cndmask_b32_e64 v248, v53, v41, s[44:45]                 // 000000010B78: D10000F8 00B25335
	v_cndmask_b32_e64 v249, v42, v53, s[44:45]                 // 000000010B80: D10000F9 00B26B2A
	v_mov_b32_dpp v41, v248 row_shr:8 row_mask:0xf bank_mask:0xf// 000000010B88: 7E5202FA FF0118F8
	v_mov_b32_dpp v42, v248 row_shl:8 row_mask:0xf bank_mask:0xf// 000000010B90: 7E5402FA FF0108F8
	v_mov_b32_dpp v43, v249 row_shr:8 row_mask:0xf bank_mask:0xf// 000000010B98: 7E5602FA FF0118F9
	v_mov_b32_dpp v44, v249 row_shl:8 row_mask:0xf bank_mask:0xf// 000000010BA0: 7E5802FA FF0108F9
	v_mov_b32_e32 v45, v248                                    // 000000010BA8: 7E5A03F8
	v_mov_b32_e32 v46, v249                                    // 000000010BAC: 7E5C03F9
	v_cndmask_b32_e64 v248, v45, v41, s[42:43]                 // 000000010BB0: D10000F8 00AA532D
	v_cndmask_b32_e64 v250, v45, v42, s[78:79]                 // 000000010BB8: D10000FA 013A552D
	v_cndmask_b32_e64 v249, v46, v43, s[42:43]                 // 000000010BC0: D10000F9 00AA572E
	v_cndmask_b32_e64 v251, v46, v44, s[78:79]                 // 000000010BC8: D10000FB 013A592E
	v_mov_b32_dpp v41, v73 row_shr:4 row_mask:0xf bank_mask:0xf// 000000010BD0: 7E5202FA FF011449
	v_mov_b32_dpp v42, v73 row_shl:4 row_mask:0xf bank_mask:0xf// 000000010BD8: 7E5402FA FF010449
	v_cndmask_b32_e64 v252, v73, v41, s[44:45]                 // 000000010BE0: D10000FC 00B25349
	v_cndmask_b32_e64 v253, v42, v73, s[44:45]                 // 000000010BE8: D10000FD 00B2932A
	v_mov_b32_dpp v41, v252 row_shr:8 row_mask:0xf bank_mask:0xf// 000000010BF0: 7E5202FA FF0118FC
	v_mov_b32_dpp v42, v252 row_shl:8 row_mask:0xf bank_mask:0xf// 000000010BF8: 7E5402FA FF0108FC
	v_mov_b32_dpp v43, v253 row_shr:8 row_mask:0xf bank_mask:0xf// 000000010C00: 7E5602FA FF0118FD
	v_mov_b32_dpp v44, v253 row_shl:8 row_mask:0xf bank_mask:0xf// 000000010C08: 7E5802FA FF0108FD
	v_mov_b32_e32 v45, v252                                    // 000000010C10: 7E5A03FC
	v_mov_b32_e32 v46, v253                                    // 000000010C14: 7E5C03FD
	v_cndmask_b32_e64 v252, v45, v41, s[42:43]                 // 000000010C18: D10000FC 00AA532D
	v_cndmask_b32_e64 v254, v45, v42, s[78:79]                 // 000000010C20: D10000FE 013A552D
	v_cndmask_b32_e64 v253, v46, v43, s[42:43]                 // 000000010C28: D10000FD 00AA572E
	v_cndmask_b32_e64 v255, v46, v44, s[78:79]                 // 000000010C30: D10000FF 013A592E
	v_cvt_f32_i32_e32 v128, v128                               // 000000010C38: 7F000B80
	v_cvt_f32_i32_e32 v129, v129                               // 000000010C3C: 7F020B81
	v_cvt_f32_i32_e32 v130, v130                               // 000000010C40: 7F040B82
	v_cvt_f32_i32_e32 v131, v131                               // 000000010C44: 7F060B83
	v_cvt_f32_i32_e32 v132, v132                               // 000000010C48: 7F080B84
	v_cvt_f32_i32_e32 v133, v133                               // 000000010C4C: 7F0A0B85
	v_cvt_f32_i32_e32 v134, v134                               // 000000010C50: 7F0C0B86
	v_cvt_f32_i32_e32 v135, v135                               // 000000010C54: 7F0E0B87
	v_cvt_f32_i32_e32 v136, v136                               // 000000010C58: 7F100B88
	v_cvt_f32_i32_e32 v137, v137                               // 000000010C5C: 7F120B89
	v_cvt_f32_i32_e32 v138, v138                               // 000000010C60: 7F140B8A
	v_cvt_f32_i32_e32 v139, v139                               // 000000010C64: 7F160B8B
	v_cvt_f32_i32_e32 v140, v140                               // 000000010C68: 7F180B8C
	v_cvt_f32_i32_e32 v141, v141                               // 000000010C6C: 7F1A0B8D
	v_cvt_f32_i32_e32 v142, v142                               // 000000010C70: 7F1C0B8E
	v_cvt_f32_i32_e32 v143, v143                               // 000000010C74: 7F1E0B8F
	v_mul_f32_e32 v128, v54, v128                              // 000000010C78: 0B010136
	v_mul_f32_e32 v129, v54, v129                              // 000000010C7C: 0B030336
	v_mul_f32_e32 v130, v54, v130                              // 000000010C80: 0B050536
	v_mul_f32_e32 v131, v54, v131                              // 000000010C84: 0B070736
	v_mul_f32_e32 v132, v54, v132                              // 000000010C88: 0B090936
	v_mul_f32_e32 v133, v54, v133                              // 000000010C8C: 0B0B0B36
	v_mul_f32_e32 v134, v54, v134                              // 000000010C90: 0B0D0D36
	v_mul_f32_e32 v135, v54, v135                              // 000000010C94: 0B0F0F36
	v_mul_f32_e32 v136, v54, v136                              // 000000010C98: 0B111136
	v_mul_f32_e32 v137, v54, v137                              // 000000010C9C: 0B131336
	v_mul_f32_e32 v138, v54, v138                              // 000000010CA0: 0B151536
	v_mul_f32_e32 v139, v54, v139                              // 000000010CA4: 0B171736
	v_mul_f32_e32 v140, v54, v140                              // 000000010CA8: 0B191936
	v_mul_f32_e32 v141, v54, v141                              // 000000010CAC: 0B1B1B36
	v_mul_f32_e32 v142, v54, v142                              // 000000010CB0: 0B1D1D36
	v_mul_f32_e32 v143, v54, v143                              // 000000010CB4: 0B1F1F36
	v_mul_f32_dpp v128, v248, v128 quad_perm:[0,0,0,0] row_mask:0xf bank_mask:0xf// 000000010CB8: 0B0100FA FF0000F8
	v_mul_f32_dpp v129, v248, v129 quad_perm:[1,1,1,1] row_mask:0xf bank_mask:0xf// 000000010CC0: 0B0302FA FF0055F8
	v_mul_f32_dpp v130, v248, v130 quad_perm:[2,2,2,2] row_mask:0xf bank_mask:0xf// 000000010CC8: 0B0504FA FF00AAF8
	v_mul_f32_dpp v131, v248, v131 quad_perm:[3,3,3,3] row_mask:0xf bank_mask:0xf// 000000010CD0: 0B0706FA FF00FFF8
	v_mul_f32_dpp v132, v249, v132 quad_perm:[0,0,0,0] row_mask:0xf bank_mask:0xf// 000000010CD8: 0B0908FA FF0000F9
	v_mul_f32_dpp v133, v249, v133 quad_perm:[1,1,1,1] row_mask:0xf bank_mask:0xf// 000000010CE0: 0B0B0AFA FF0055F9
	v_mul_f32_dpp v134, v249, v134 quad_perm:[2,2,2,2] row_mask:0xf bank_mask:0xf// 000000010CE8: 0B0D0CFA FF00AAF9
	v_mul_f32_dpp v135, v249, v135 quad_perm:[3,3,3,3] row_mask:0xf bank_mask:0xf// 000000010CF0: 0B0F0EFA FF00FFF9
	v_mul_f32_dpp v136, v250, v136 quad_perm:[0,0,0,0] row_mask:0xf bank_mask:0xf// 000000010CF8: 0B1110FA FF0000FA
	v_mul_f32_dpp v137, v250, v137 quad_perm:[1,1,1,1] row_mask:0xf bank_mask:0xf// 000000010D00: 0B1312FA FF0055FA
	v_mul_f32_dpp v138, v250, v138 quad_perm:[2,2,2,2] row_mask:0xf bank_mask:0xf// 000000010D08: 0B1514FA FF00AAFA
	v_mul_f32_dpp v139, v250, v139 quad_perm:[3,3,3,3] row_mask:0xf bank_mask:0xf// 000000010D10: 0B1716FA FF00FFFA
	v_mul_f32_dpp v140, v251, v140 quad_perm:[0,0,0,0] row_mask:0xf bank_mask:0xf// 000000010D18: 0B1918FA FF0000FB
	v_mul_f32_dpp v141, v251, v141 quad_perm:[1,1,1,1] row_mask:0xf bank_mask:0xf// 000000010D20: 0B1B1AFA FF0055FB
	v_mul_f32_dpp v142, v251, v142 quad_perm:[2,2,2,2] row_mask:0xf bank_mask:0xf// 000000010D28: 0B1D1CFA FF00AAFB
	v_mul_f32_dpp v143, v251, v143 quad_perm:[3,3,3,3] row_mask:0xf bank_mask:0xf// 000000010D30: 0B1F1EFA FF00FFFB
	s_and_b32 s60, s72, 0xff                                   // 000000010D38: 863CFF48 000000FF
	v_mov_b32_e32 v42, s60                                     // 000000010D40: 7E54023C
	v_lshrrev_b32_e32 v240, 4, v0                              // 000000010D44: 21E00084
	v_mul_i32_i24_e32 v240, 4, v240                            // 000000010D48: 0DE1E084
	s_mul_i32 s60, s7, 16                                      // 000000010D4C: 923C9007
	v_add_u32_e32 v240, s60, v240                              // 000000010D50: 69E1E03C
	v_add_u32_e32 v241, 1, v240                                // 000000010D54: 69E3E081
	v_add_u32_e32 v242, 2, v240                                // 000000010D58: 69E5E082
	v_add_u32_e32 v243, 3, v240                                // 000000010D5C: 69E7E083
	v_mov_b32_e32 v41, 0xff800000                              // 000000010D60: 7E5202FF FF800000
	v_cmp_lt_u32_e64 s[40:41], v240, v42                       // 000000010D68: D0C90028 000255F0
	v_add_u32_e32 v240, 64, v240                               // 000000010D70: 69E1E0C0
	s_nop 0                                                    // 000000010D74: BF800000
	v_cndmask_b32_e64 v128, v41, v128, s[40:41]                // 000000010D78: D1000080 00A30129
	v_cmp_lt_u32_e64 s[40:41], v241, v42                       // 000000010D80: D0C90028 000255F1
	v_add_u32_e32 v241, 64, v241                               // 000000010D88: 69E3E2C0
	s_nop 0                                                    // 000000010D8C: BF800000
	v_cndmask_b32_e64 v129, v41, v129, s[40:41]                // 000000010D90: D1000081 00A30329
	v_cmp_lt_u32_e64 s[40:41], v242, v42                       // 000000010D98: D0C90028 000255F2
	v_add_u32_e32 v242, 64, v242                               // 000000010DA0: 69E5E4C0
	s_nop 0                                                    // 000000010DA4: BF800000
	v_cndmask_b32_e64 v130, v41, v130, s[40:41]                // 000000010DA8: D1000082 00A30529
	v_cmp_lt_u32_e64 s[40:41], v243, v42                       // 000000010DB0: D0C90028 000255F3
	v_add_u32_e32 v243, 64, v243                               // 000000010DB8: 69E7E6C0
	s_nop 0                                                    // 000000010DBC: BF800000
	v_cndmask_b32_e64 v131, v41, v131, s[40:41]                // 000000010DC0: D1000083 00A30729
	v_cmp_lt_u32_e64 s[40:41], v240, v42                       // 000000010DC8: D0C90028 000255F0
	v_add_u32_e32 v240, 64, v240                               // 000000010DD0: 69E1E0C0
	s_nop 0                                                    // 000000010DD4: BF800000
	v_cndmask_b32_e64 v132, v41, v132, s[40:41]                // 000000010DD8: D1000084 00A30929
	v_cmp_lt_u32_e64 s[40:41], v241, v42                       // 000000010DE0: D0C90028 000255F1
	v_add_u32_e32 v241, 64, v241                               // 000000010DE8: 69E3E2C0
	s_nop 0                                                    // 000000010DEC: BF800000
	v_cndmask_b32_e64 v133, v41, v133, s[40:41]                // 000000010DF0: D1000085 00A30B29
	v_cmp_lt_u32_e64 s[40:41], v242, v42                       // 000000010DF8: D0C90028 000255F2
	v_add_u32_e32 v242, 64, v242                               // 000000010E00: 69E5E4C0
	s_nop 0                                                    // 000000010E04: BF800000
	v_cndmask_b32_e64 v134, v41, v134, s[40:41]                // 000000010E08: D1000086 00A30D29
	v_cmp_lt_u32_e64 s[40:41], v243, v42                       // 000000010E10: D0C90028 000255F3
	v_add_u32_e32 v243, 64, v243                               // 000000010E18: 69E7E6C0
	s_nop 0                                                    // 000000010E1C: BF800000
	v_cndmask_b32_e64 v135, v41, v135, s[40:41]                // 000000010E20: D1000087 00A30F29
	v_cmp_lt_u32_e64 s[40:41], v240, v42                       // 000000010E28: D0C90028 000255F0
	v_add_u32_e32 v240, 64, v240                               // 000000010E30: 69E1E0C0
	s_nop 0                                                    // 000000010E34: BF800000
	v_cndmask_b32_e64 v136, v41, v136, s[40:41]                // 000000010E38: D1000088 00A31129
	v_cmp_lt_u32_e64 s[40:41], v241, v42                       // 000000010E40: D0C90028 000255F1
	v_add_u32_e32 v241, 64, v241                               // 000000010E48: 69E3E2C0
	s_nop 0                                                    // 000000010E4C: BF800000
	v_cndmask_b32_e64 v137, v41, v137, s[40:41]                // 000000010E50: D1000089 00A31329
	v_cmp_lt_u32_e64 s[40:41], v242, v42                       // 000000010E58: D0C90028 000255F2
	v_add_u32_e32 v242, 64, v242                               // 000000010E60: 69E5E4C0
	s_nop 0                                                    // 000000010E64: BF800000
	v_cndmask_b32_e64 v138, v41, v138, s[40:41]                // 000000010E68: D100008A 00A31529
	v_cmp_lt_u32_e64 s[40:41], v243, v42                       // 000000010E70: D0C90028 000255F3
	v_add_u32_e32 v243, 64, v243                               // 000000010E78: 69E7E6C0
	s_nop 0                                                    // 000000010E7C: BF800000
	v_cndmask_b32_e64 v139, v41, v139, s[40:41]                // 000000010E80: D100008B 00A31729
	v_cmp_lt_u32_e64 s[40:41], v240, v42                       // 000000010E88: D0C90028 000255F0
	v_add_u32_e32 v240, 64, v240                               // 000000010E90: 69E1E0C0
	s_nop 0                                                    // 000000010E94: BF800000
	v_cndmask_b32_e64 v140, v41, v140, s[40:41]                // 000000010E98: D100008C 00A31929
	v_cmp_lt_u32_e64 s[40:41], v241, v42                       // 000000010EA0: D0C90028 000255F1
	v_add_u32_e32 v241, 64, v241                               // 000000010EA8: 69E3E2C0
	s_nop 0                                                    // 000000010EAC: BF800000
	v_cndmask_b32_e64 v141, v41, v141, s[40:41]                // 000000010EB0: D100008D 00A31B29
	v_cmp_lt_u32_e64 s[40:41], v242, v42                       // 000000010EB8: D0C90028 000255F2
	v_add_u32_e32 v242, 64, v242                               // 000000010EC0: 69E5E4C0
	s_nop 0                                                    // 000000010EC4: BF800000
	v_cndmask_b32_e64 v142, v41, v142, s[40:41]                // 000000010EC8: D100008E 00A31D29
	v_cmp_lt_u32_e64 s[40:41], v243, v42                       // 000000010ED0: D0C90028 000255F3
	v_add_u32_e32 v243, 64, v243                               // 000000010ED8: 69E7E6C0
	s_nop 0                                                    // 000000010EDC: BF800000
	v_cndmask_b32_e64 v143, v41, v143, s[40:41]                // 000000010EE0: D100008F 00A31F29
	v_mov_b32_e32 v62, v128                                    // 000000010EE8: 7E7C0380
	v_max3_f32 v62, v128, v129, v62                            // 000000010EEC: D1D3003E 04FB0380
	v_max3_f32 v62, v130, v131, v62                            // 000000010EF4: D1D3003E 04FB0782
	v_max3_f32 v62, v132, v133, v62                            // 000000010EFC: D1D3003E 04FB0B84
	v_max3_f32 v62, v134, v135, v62                            // 000000010F04: D1D3003E 04FB0F86
	v_max3_f32 v62, v136, v137, v62                            // 000000010F0C: D1D3003E 04FB1388
	v_max3_f32 v62, v138, v139, v62                            // 000000010F14: D1D3003E 04FB178A
	v_max3_f32 v62, v140, v141, v62                            // 000000010F1C: D1D3003E 04FB1B8C
	v_max3_f32 v62, v142, v143, v62                            // 000000010F24: D1D3003E 04FB1F8E
	ds_write_b32 v11, v62 offset:16896                         // 000000010F2C: D81A4200 00003E0B
	v_mul_u32_u24_dpp v41, v19, v68 row_newbcast:1 row_mask:0xf bank_mask:0xf// 000000010F34: 105288FA FF015113
	v_mul_u32_u24_dpp v42, v19, v68 row_newbcast:5 row_mask:0xf bank_mask:0xf// 000000010F3C: 105488FA FF015513
	v_mul_u32_u24_dpp v43, v19, v68 row_newbcast:9 row_mask:0xf bank_mask:0xf// 000000010F44: 105688FA FF015913
	v_mul_u32_u24_dpp v44, v19, v68 row_newbcast:13 row_mask:0xf bank_mask:0xf// 000000010F4C: 105888FA FF015D13
	v_add_u32_e32 v33, v41, v7                                 // 000000010F54: 68420F29
	v_add_u32_e32 v34, v42, v7                                 // 000000010F58: 68440F2A
	v_add_u32_e32 v35, v43, v7                                 // 000000010F5C: 68460F2B
	v_add_u32_e32 v36, v44, v7                                 // 000000010F60: 68480F2C
	v_mul_f32_e32 v224, v63, v224                              // 000000010F64: 0BC1C13F
	v_mul_f32_e32 v225, v63, v225                              // 000000010F68: 0BC3C33F
	v_mul_f32_e32 v226, v63, v226                              // 000000010F6C: 0BC5C53F
	v_mul_f32_e32 v227, v63, v227                              // 000000010F70: 0BC7C73F
	v_mul_f32_e32 v228, v63, v228                              // 000000010F74: 0BC9C93F
	v_mul_f32_e32 v229, v63, v229                              // 000000010F78: 0BCBCB3F
	v_mul_f32_e32 v230, v63, v230                              // 000000010F7C: 0BCDCD3F
	v_mul_f32_e32 v231, v63, v231                              // 000000010F80: 0BCFCF3F
	s_waitcnt lgkmcnt(0)                                       // 000000010F84: BF8CC07F
	s_barrier                                                  // 000000010F88: BF8A0000
	ds_read_b32 v80, v10 offset:16896                          // 000000010F8C: D86C4200 5000000A
	ds_read_b32 v81, v10 offset:16960                          // 000000010F94: D86C4240 5100000A
	ds_read_b32 v82, v10 offset:17024                          // 000000010F9C: D86C4280 5200000A
	ds_read_b32 v83, v10 offset:17088                          // 000000010FA4: D86C42C0 5300000A
	ds_read_b32 v84, v10 offset:17152                          // 000000010FAC: D86C4300 5400000A
	ds_read_b32 v85, v10 offset:17216                          // 000000010FB4: D86C4340 5500000A
	ds_read_b32 v86, v10 offset:17280                          // 000000010FBC: D86C4380 5600000A
	ds_read_b32 v87, v10 offset:17344                          // 000000010FC4: D86C43C0 5700000A
	ds_read_b32 v88, v10 offset:17408                          // 000000010FCC: D86C4400 5800000A
	ds_read_b32 v89, v10 offset:17472                          // 000000010FD4: D86C4440 5900000A
	ds_read_b32 v90, v10 offset:17536                          // 000000010FDC: D86C4480 5A00000A
	ds_read_b32 v91, v10 offset:17600                          // 000000010FE4: D86C44C0 5B00000A
	ds_read_b32 v92, v10 offset:17664                          // 000000010FEC: D86C4500 5C00000A
	ds_read_b32 v93, v10 offset:17728                          // 000000010FF4: D86C4540 5D00000A
	ds_read_b32 v94, v10 offset:17792                          // 000000010FFC: D86C4580 5E00000A
	ds_read_b32 v95, v10 offset:17856                          // 000000011004: D86C45C0 5F00000A
	v_cvt_f32_i32_e32 v192, v192                               // 00000001100C: 7F800BC0
	v_cvt_f32_i32_e32 v193, v193                               // 000000011010: 7F820BC1
	v_cvt_f32_i32_e32 v194, v194                               // 000000011014: 7F840BC2
	v_cvt_f32_i32_e32 v195, v195                               // 000000011018: 7F860BC3
	v_cvt_f32_i32_e32 v196, v196                               // 00000001101C: 7F880BC4
	v_cvt_f32_i32_e32 v197, v197                               // 000000011020: 7F8A0BC5
	v_cvt_f32_i32_e32 v198, v198                               // 000000011024: 7F8C0BC6
	v_cvt_f32_i32_e32 v199, v199                               // 000000011028: 7F8E0BC7
	v_mul_f32_e32 v192, v58, v192                              // 00000001102C: 0B81813A
	v_mul_f32_e32 v193, v58, v193                              // 000000011030: 0B83833A
	v_mul_f32_e32 v194, v58, v194                              // 000000011034: 0B85853A
	v_mul_f32_e32 v195, v58, v195                              // 000000011038: 0B87873A
	v_mul_f32_e32 v196, v58, v196                              // 00000001103C: 0B89893A
	v_mul_f32_e32 v197, v58, v197                              // 000000011040: 0B8B8B3A
	v_mul_f32_e32 v198, v58, v198                              // 000000011044: 0B8D8D3A
	v_mul_f32_e32 v199, v58, v199                              // 000000011048: 0B8F8F3A
	s_waitcnt lgkmcnt(0)                                       // 00000001104C: BF8CC07F
	v_max3_f32 v62, v80, v81, v62                              // 000000011050: D1D3003E 04FAA350
	v_max3_f32 v62, v82, v83, v62                              // 000000011058: D1D3003E 04FAA752
	v_max3_f32 v62, v84, v85, v62                              // 000000011060: D1D3003E 04FAAB54
	v_max3_f32 v62, v86, v87, v62                              // 000000011068: D1D3003E 04FAAF56
	v_max3_f32 v62, v88, v89, v62                              // 000000011070: D1D3003E 04FAB358
	v_max3_f32 v62, v90, v91, v62                              // 000000011078: D1D3003E 04FAB75A
	v_max3_f32 v62, v92, v93, v62                              // 000000011080: D1D3003E 04FABB5C
	v_max3_f32 v62, v94, v95, v62                              // 000000011088: D1D3003E 04FABF5E
	v_mov_b32_e32 v41, 0xff800000                              // 000000011090: 7E5202FF FF800000
	v_cmp_eq_u32_e64 s[40:41], v41, v14                        // 000000011098: D0CA0028 00021D29
	s_nop 1                                                    // 0000000110A0: BF800001
	v_max_f32_e32 v18, v62, v14                                // 0000000110A4: 16241D3E
	v_mul_f32_e32 v67, s64, v18                                // 0000000110A8: 0A862440
	v_fma_f32 v128, v128, s64, -v67                            // 0000000110AC: D1CB0080 850C8180
	v_fma_f32 v129, v129, s64, -v67                            // 0000000110B4: D1CB0081 850C8181
	v_fma_f32 v130, v130, s64, -v67                            // 0000000110BC: D1CB0082 850C8182
	v_fma_f32 v131, v131, s64, -v67                            // 0000000110C4: D1CB0083 850C8183
	v_fma_f32 v132, v132, s64, -v67                            // 0000000110CC: D1CB0084 850C8184
	v_fma_f32 v133, v133, s64, -v67                            // 0000000110D4: D1CB0085 850C8185
	v_fma_f32 v134, v134, s64, -v67                            // 0000000110DC: D1CB0086 850C8186
	v_fma_f32 v135, v135, s64, -v67                            // 0000000110E4: D1CB0087 850C8187
	v_fma_f32 v136, v136, s64, -v67                            // 0000000110EC: D1CB0088 850C8188
	v_fma_f32 v137, v137, s64, -v67                            // 0000000110F4: D1CB0089 850C8189
	v_fma_f32 v138, v138, s64, -v67                            // 0000000110FC: D1CB008A 850C818A
	v_fma_f32 v139, v139, s64, -v67                            // 000000011104: D1CB008B 850C818B
	v_fma_f32 v140, v140, s64, -v67                            // 00000001110C: D1CB008C 850C818C
	v_fma_f32 v141, v141, s64, -v67                            // 000000011114: D1CB008D 850C818D
	v_fma_f32 v142, v142, s64, -v67                            // 00000001111C: D1CB008E 850C818E
	v_fma_f32 v143, v143, s64, -v67                            // 000000011124: D1CB008F 850C818F
	v_exp_f32_e32 v128, v128                                   // 00000001112C: 7F004180
	v_exp_f32_e32 v129, v129                                   // 000000011130: 7F024181
	v_exp_f32_e32 v130, v130                                   // 000000011134: 7F044182
	v_exp_f32_e32 v131, v131                                   // 000000011138: 7F064183
	v_exp_f32_e32 v132, v132                                   // 00000001113C: 7F084184
	v_exp_f32_e32 v133, v133                                   // 000000011140: 7F0A4185
	v_exp_f32_e32 v134, v134                                   // 000000011144: 7F0C4186
	v_exp_f32_e32 v135, v135                                   // 000000011148: 7F0E4187
	v_exp_f32_e32 v136, v136                                   // 00000001114C: 7F104188
	v_exp_f32_e32 v137, v137                                   // 000000011150: 7F124189
	v_exp_f32_e32 v138, v138                                   // 000000011154: 7F14418A
	v_exp_f32_e32 v139, v139                                   // 000000011158: 7F16418B
	v_exp_f32_e32 v140, v140                                   // 00000001115C: 7F18418C
	v_exp_f32_e32 v141, v141                                   // 000000011160: 7F1A418D
	v_exp_f32_e32 v142, v142                                   // 000000011164: 7F1C418E
	v_exp_f32_e32 v143, v143                                   // 000000011168: 7F1E418F
	v_mul_f32_dpp v240, v252, v128 quad_perm:[0,0,0,0] row_mask:0xf bank_mask:0xf// 00000001116C: 0BE100FA FF0000FC
	v_mul_f32_dpp v241, v252, v129 quad_perm:[1,1,1,1] row_mask:0xf bank_mask:0xf// 000000011174: 0BE302FA FF0055FC
	v_mul_f32_dpp v242, v252, v130 quad_perm:[2,2,2,2] row_mask:0xf bank_mask:0xf// 00000001117C: 0BE504FA FF00AAFC
	v_mul_f32_dpp v243, v252, v131 quad_perm:[3,3,3,3] row_mask:0xf bank_mask:0xf// 000000011184: 0BE706FA FF00FFFC
	v_mul_f32_dpp v244, v253, v132 quad_perm:[0,0,0,0] row_mask:0xf bank_mask:0xf// 00000001118C: 0BE908FA FF0000FD
	v_mul_f32_dpp v245, v253, v133 quad_perm:[1,1,1,1] row_mask:0xf bank_mask:0xf// 000000011194: 0BEB0AFA FF0055FD
	v_mul_f32_dpp v246, v253, v134 quad_perm:[2,2,2,2] row_mask:0xf bank_mask:0xf// 00000001119C: 0BED0CFA FF00AAFD
	v_mul_f32_dpp v247, v253, v135 quad_perm:[3,3,3,3] row_mask:0xf bank_mask:0xf// 0000000111A4: 0BEF0EFA FF00FFFD
	v_mul_f32_dpp v248, v254, v136 quad_perm:[0,0,0,0] row_mask:0xf bank_mask:0xf// 0000000111AC: 0BF110FA FF0000FE
	v_mul_f32_dpp v249, v254, v137 quad_perm:[1,1,1,1] row_mask:0xf bank_mask:0xf// 0000000111B4: 0BF312FA FF0055FE
	v_mul_f32_dpp v250, v254, v138 quad_perm:[2,2,2,2] row_mask:0xf bank_mask:0xf// 0000000111BC: 0BF514FA FF00AAFE
	v_mul_f32_dpp v251, v254, v139 quad_perm:[3,3,3,3] row_mask:0xf bank_mask:0xf// 0000000111C4: 0BF716FA FF00FFFE
	v_mul_f32_dpp v252, v255, v140 quad_perm:[0,0,0,0] row_mask:0xf bank_mask:0xf// 0000000111CC: 0BF918FA FF0000FF
	v_mul_f32_dpp v253, v255, v141 quad_perm:[1,1,1,1] row_mask:0xf bank_mask:0xf// 0000000111D4: 0BFB1AFA FF0055FF
	v_mul_f32_dpp v254, v255, v142 quad_perm:[2,2,2,2] row_mask:0xf bank_mask:0xf// 0000000111DC: 0BFD1CFA FF00AAFF
	v_mul_f32_dpp v255, v255, v143 quad_perm:[3,3,3,3] row_mask:0xf bank_mask:0xf// 0000000111E4: 0BFF1EFA FF00FFFF
	v_mov_b32_e32 v62, 0x358637bd                              // 0000000111EC: 7E7C02FF 358637BD
	v_max3_f32 v62, |v240|, |v241|, v62                        // 0000000111F4: D1D3033E 04FBE3F0
	v_max3_f32 v62, |v242|, |v243|, v62                        // 0000000111FC: D1D3033E 04FBE7F2
	v_max3_f32 v62, |v244|, |v245|, v62                        // 000000011204: D1D3033E 04FBEBF4
	v_max3_f32 v62, |v246|, |v247|, v62                        // 00000001120C: D1D3033E 04FBEFF6
	v_max3_f32 v62, |v248|, |v249|, v62                        // 000000011214: D1D3033E 04FBF3F8
	v_max3_f32 v62, |v250|, |v251|, v62                        // 00000001121C: D1D3033E 04FBF7FA
	v_max3_f32 v62, |v252|, |v253|, v62                        // 000000011224: D1D3033E 04FBFBFC
	v_max3_f32 v62, |v254|, |v255|, v62                        // 00000001122C: D1D3033E 04FBFFFE
	ds_write_b32 v11, v62 offset:20992                         // 000000011234: D81A5200 00003E0B
	v_sub_f32_e32 v63, v14, v18                                // 00000001123C: 047E250E
	v_cndmask_b32_e64 v63, v63, 0, s[40:41]                    // 000000011240: D100003F 00A1013F
	v_mov_b32_e32 v14, v18                                     // 000000011248: 7E1C0312
	v_mul_f32_e32 v63, s64, v63                                // 00000001124C: 0A7E7E40
	v_exp_f32_e32 v63, v63                                     // 000000011250: 7E7E413F
	s_waitcnt lgkmcnt(0)                                       // 000000011254: BF8CC07F
	s_barrier                                                  // 000000011258: BF8A0000
	ds_read_b32 v80, v10 offset:20992                          // 00000001125C: D86C5200 5000000A
	ds_read_b32 v81, v10 offset:21056                          // 000000011264: D86C5240 5100000A
	ds_read_b32 v82, v10 offset:21120                          // 00000001126C: D86C5280 5200000A
	ds_read_b32 v83, v10 offset:21184                          // 000000011274: D86C52C0 5300000A
	ds_read_b32 v84, v10 offset:21248                          // 00000001127C: D86C5300 5400000A
	ds_read_b32 v85, v10 offset:21312                          // 000000011284: D86C5340 5500000A
	ds_read_b32 v86, v10 offset:21376                          // 00000001128C: D86C5380 5600000A
	ds_read_b32 v87, v10 offset:21440                          // 000000011294: D86C53C0 5700000A
	ds_read_b32 v88, v10 offset:21504                          // 00000001129C: D86C5400 5800000A
	ds_read_b32 v89, v10 offset:21568                          // 0000000112A4: D86C5440 5900000A
	ds_read_b32 v90, v10 offset:21632                          // 0000000112AC: D86C5480 5A00000A
	ds_read_b32 v91, v10 offset:21696                          // 0000000112B4: D86C54C0 5B00000A
	ds_read_b32 v92, v10 offset:21760                          // 0000000112BC: D86C5500 5C00000A
	ds_read_b32 v93, v10 offset:21824                          // 0000000112C4: D86C5540 5D00000A
	ds_read_b32 v94, v10 offset:21888                          // 0000000112CC: D86C5580 5E00000A
	ds_read_b32 v95, v10 offset:21952                          // 0000000112D4: D86C55C0 5F00000A
	v_mul_f32_e32 v47, v63, v47                                // 0000000112DC: 0A5E5F3F
	v_mov_b32_e32 v18, v128                                    // 0000000112E0: 7E240380
	v_add_f32_e32 v18, v129, v18                               // 0000000112E4: 02242581
	v_add_f32_e32 v18, v130, v18                               // 0000000112E8: 02242582
	v_add_f32_e32 v18, v131, v18                               // 0000000112EC: 02242583
	v_add_f32_e32 v18, v132, v18                               // 0000000112F0: 02242584
	v_add_f32_e32 v18, v133, v18                               // 0000000112F4: 02242585
	v_add_f32_e32 v18, v134, v18                               // 0000000112F8: 02242586
	v_add_f32_e32 v18, v135, v18                               // 0000000112FC: 02242587
	v_add_f32_e32 v18, v136, v18                               // 000000011300: 02242588
	v_add_f32_e32 v18, v137, v18                               // 000000011304: 02242589
	v_add_f32_e32 v18, v138, v18                               // 000000011308: 0224258A
	v_add_f32_e32 v18, v139, v18                               // 00000001130C: 0224258B
	v_add_f32_e32 v18, v140, v18                               // 000000011310: 0224258C
	v_add_f32_e32 v18, v141, v18                               // 000000011314: 0224258D
	v_add_f32_e32 v18, v142, v18                               // 000000011318: 0224258E
	v_add_f32_e32 v18, v143, v18                               // 00000001131C: 0224258F
	v_add_f32_e32 v47, v18, v47                                // 000000011320: 025E5F12
	s_waitcnt lgkmcnt(0)                                       // 000000011324: BF8CC07F
	v_max3_f32 v62, |v80|, |v81|, v62                          // 000000011328: D1D3033E 04FAA350
	v_max3_f32 v62, |v82|, |v83|, v62                          // 000000011330: D1D3033E 04FAA752
	v_max3_f32 v62, |v84|, |v85|, v62                          // 000000011338: D1D3033E 04FAAB54
	v_max3_f32 v62, |v86|, |v87|, v62                          // 000000011340: D1D3033E 04FAAF56
	v_max3_f32 v62, |v88|, |v89|, v62                          // 000000011348: D1D3033E 04FAB358
	v_max3_f32 v62, |v90|, |v91|, v62                          // 000000011350: D1D3033E 04FAB75A
	v_max3_f32 v62, |v92|, |v93|, v62                          // 000000011358: D1D3033E 04FABB5C
	v_max3_f32 v62, |v94|, |v95|, v62                          // 000000011360: D1D3033E 04FABF5E
	s_nop 2                                                    // 000000011368: BF800002
	v_rcp_f32_e32 v62, v62                                     // 00000001136C: 7E7C453E
	s_nop 1                                                    // 000000011370: BF800001
	v_mul_f32_e32 v62, 0x42fe0000, v62                         // 000000011374: 0A7C7CFF 42FE0000
	v_mul_f32_e32 v128, v62, v240                              // 00000001137C: 0B01E13E
	v_mul_f32_e32 v129, v62, v241                              // 000000011380: 0B03E33E
	v_mul_f32_e32 v130, v62, v242                              // 000000011384: 0B05E53E
	v_mul_f32_e32 v131, v62, v243                              // 000000011388: 0B07E73E
	v_mul_f32_e32 v132, v62, v244                              // 00000001138C: 0B09E93E
	v_mul_f32_e32 v133, v62, v245                              // 000000011390: 0B0BEB3E
	v_mul_f32_e32 v134, v62, v246                              // 000000011394: 0B0DED3E
	v_mul_f32_e32 v135, v62, v247                              // 000000011398: 0B0FEF3E
	v_mul_f32_e32 v136, v62, v248                              // 00000001139C: 0B11F13E
	v_mul_f32_e32 v137, v62, v249                              // 0000000113A0: 0B13F33E
	v_mul_f32_e32 v138, v62, v250                              // 0000000113A4: 0B15F53E
	v_mul_f32_e32 v139, v62, v251                              // 0000000113A8: 0B17F73E
	v_mul_f32_e32 v140, v62, v252                              // 0000000113AC: 0B19F93E
	v_mul_f32_e32 v141, v62, v253                              // 0000000113B0: 0B1BFB3E
	v_mul_f32_e32 v142, v62, v254                              // 0000000113B4: 0B1DFD3E
	v_mul_f32_e32 v143, v62, v255                              // 0000000113B8: 0B1FFF3E
	v_cvt_i32_f32_e32 v128, v128                               // 0000000113BC: 7F001180
	v_cvt_i32_f32_e32 v129, v129                               // 0000000113C0: 7F021181
	v_cvt_i32_f32_e32 v130, v130                               // 0000000113C4: 7F041182
	v_cvt_i32_f32_e32 v131, v131                               // 0000000113C8: 7F061183
	v_cvt_i32_f32_e32 v132, v132                               // 0000000113CC: 7F081184
	v_cvt_i32_f32_e32 v133, v133                               // 0000000113D0: 7F0A1185
	v_cvt_i32_f32_e32 v134, v134                               // 0000000113D4: 7F0C1186
	v_cvt_i32_f32_e32 v135, v135                               // 0000000113D8: 7F0E1187
	v_cvt_i32_f32_e32 v136, v136                               // 0000000113DC: 7F101188
	v_cvt_i32_f32_e32 v137, v137                               // 0000000113E0: 7F121189
	v_cvt_i32_f32_e32 v138, v138                               // 0000000113E4: 7F14118A
	v_cvt_i32_f32_e32 v139, v139                               // 0000000113E8: 7F16118B
	v_cvt_i32_f32_e32 v140, v140                               // 0000000113EC: 7F18118C
	v_cvt_i32_f32_e32 v141, v141                               // 0000000113F0: 7F1A118D
	v_cvt_i32_f32_e32 v142, v142                               // 0000000113F4: 7F1C118E
	v_cvt_i32_f32_e32 v143, v143                               // 0000000113F8: 7F1E118F
	v_perm_b32 v128, v129, v128, s53                           // 0000000113FC: D1ED0080 00D70181
	v_perm_b32 v128, v130, v128, s54                           // 000000011404: D1ED0080 00DB0182
	v_perm_b32 v128, v131, v128, s55                           // 00000001140C: D1ED0080 00DF0183
	v_perm_b32 v129, v133, v132, s53                           // 000000011414: D1ED0081 00D70985
	v_perm_b32 v129, v134, v129, s54                           // 00000001141C: D1ED0081 00DB0386
	v_perm_b32 v129, v135, v129, s55                           // 000000011424: D1ED0081 00DF0387
	v_perm_b32 v130, v137, v136, s53                           // 00000001142C: D1ED0082 00D71189
	v_perm_b32 v130, v138, v130, s54                           // 000000011434: D1ED0082 00DB058A
	v_perm_b32 v130, v139, v130, s55                           // 00000001143C: D1ED0082 00DF058B
	v_perm_b32 v131, v141, v140, s53                           // 000000011444: D1ED0083 00D7198D
	v_perm_b32 v131, v142, v131, s54                           // 00000001144C: D1ED0083 00DB078E
	v_perm_b32 v131, v143, v131, s55                           // 000000011454: D1ED0083 00DF078F
	ds_write_b32 v13, v128 offset:25088                        // 00000001145C: D81A6200 0000800D
	ds_write_b32 v13, v129 offset:26112                        // 000000011464: D81A6600 0000810D
	ds_write_b32 v13, v130 offset:27136                        // 00000001146C: D81A6A00 0000820D
	ds_write_b32 v13, v131 offset:28160                        // 000000011474: D81A6E00 0000830D
	v_add_f32_e32 v224, v224, v192                             // 00000001147C: 03C181E0
	v_add_f32_e32 v225, v225, v193                             // 000000011480: 03C383E1
	v_add_f32_e32 v226, v226, v194                             // 000000011484: 03C585E2
	v_add_f32_e32 v227, v227, v195                             // 000000011488: 03C787E3
	v_add_f32_e32 v228, v228, v196                             // 00000001148C: 03C989E4
	v_add_f32_e32 v229, v229, v197                             // 000000011490: 03CB8BE5
	v_add_f32_e32 v230, v230, v198                             // 000000011494: 03CD8DE6
	v_add_f32_e32 v231, v231, v199                             // 000000011498: 03CF8FE7
	v_rcp_f32_e32 v58, v62                                     // 00000001149C: 7E74453E
	s_waitcnt lgkmcnt(0)                                       // 0000000114A0: BF8CC07F
	s_barrier                                                  // 0000000114A4: BF8A0000
	ds_read_b64 v[128:129], v12 offset:25088                   // 0000000114A8: D8EC6200 8000000C
	ds_read_b64 v[130:131], v12 offset:25216                   // 0000000114B0: D8EC6280 8200000C
	ds_read_b64 v[132:133], v12 offset:26112                   // 0000000114B8: D8EC6600 8400000C
	ds_read_b64 v[134:135], v12 offset:26240                   // 0000000114C0: D8EC6680 8600000C
	ds_read_b64 v[136:137], v12 offset:27136                   // 0000000114C8: D8EC6A00 8800000C
	ds_read_b64 v[138:139], v12 offset:27264                   // 0000000114D0: D8EC6A80 8A00000C
	ds_read_b64 v[140:141], v12 offset:28160                   // 0000000114D8: D8EC6E00 8C00000C
	ds_read_b64 v[142:143], v12 offset:28288                   // 0000000114E0: D8EC6E80 8E00000C
	v_mov_b32_dpp v41, v53 row_shr:4 row_mask:0xf bank_mask:0xf// 0000000114E8: 7E5202FA FF011435
	v_mov_b32_dpp v42, v53 row_shl:4 row_mask:0xf bank_mask:0xf// 0000000114F0: 7E5402FA FF010435
	v_cndmask_b32_e64 v248, v53, v41, s[44:45]                 // 0000000114F8: D10000F8 00B25335
	v_cndmask_b32_e64 v249, v42, v53, s[44:45]                 // 000000011500: D10000F9 00B26B2A
	v_mov_b32_dpp v41, v248 row_shr:8 row_mask:0xf bank_mask:0xf// 000000011508: 7E5202FA FF0118F8
	v_mov_b32_dpp v42, v248 row_shl:8 row_mask:0xf bank_mask:0xf// 000000011510: 7E5402FA FF0108F8
	v_mov_b32_dpp v43, v249 row_shr:8 row_mask:0xf bank_mask:0xf// 000000011518: 7E5602FA FF0118F9
	v_mov_b32_dpp v44, v249 row_shl:8 row_mask:0xf bank_mask:0xf// 000000011520: 7E5802FA FF0108F9
	v_mov_b32_e32 v45, v248                                    // 000000011528: 7E5A03F8
	v_mov_b32_e32 v46, v249                                    // 00000001152C: 7E5C03F9
	v_cndmask_b32_e64 v248, v45, v41, s[42:43]                 // 000000011530: D10000F8 00AA532D
	v_cndmask_b32_e64 v250, v45, v42, s[78:79]                 // 000000011538: D10000FA 013A552D
	v_cndmask_b32_e64 v249, v46, v43, s[42:43]                 // 000000011540: D10000F9 00AA572E
	v_cndmask_b32_e64 v251, v46, v44, s[78:79]                 // 000000011548: D10000FB 013A592E
	v_mov_b32_dpp v41, v73 row_shr:4 row_mask:0xf bank_mask:0xf// 000000011550: 7E5202FA FF011449
	v_mov_b32_dpp v42, v73 row_shl:4 row_mask:0xf bank_mask:0xf// 000000011558: 7E5402FA FF010449
	v_cndmask_b32_e64 v252, v73, v41, s[44:45]                 // 000000011560: D10000FC 00B25349
	v_cndmask_b32_e64 v253, v42, v73, s[44:45]                 // 000000011568: D10000FD 00B2932A
	v_mov_b32_dpp v41, v252 row_shr:8 row_mask:0xf bank_mask:0xf// 000000011570: 7E5202FA FF0118FC
	v_mov_b32_dpp v42, v252 row_shl:8 row_mask:0xf bank_mask:0xf// 000000011578: 7E5402FA FF0108FC
	v_mov_b32_dpp v43, v253 row_shr:8 row_mask:0xf bank_mask:0xf// 000000011580: 7E5602FA FF0118FD
	v_mov_b32_dpp v44, v253 row_shl:8 row_mask:0xf bank_mask:0xf// 000000011588: 7E5802FA FF0108FD
	v_mov_b32_e32 v45, v252                                    // 000000011590: 7E5A03FC
	v_mov_b32_e32 v46, v253                                    // 000000011594: 7E5C03FD
	v_cndmask_b32_e64 v252, v45, v41, s[42:43]                 // 000000011598: D10000FC 00AA532D
	v_cndmask_b32_e64 v254, v45, v42, s[78:79]                 // 0000000115A0: D10000FE 013A552D
	v_cndmask_b32_e64 v253, v46, v43, s[42:43]                 // 0000000115A8: D10000FD 00AA572E
	v_cndmask_b32_e64 v255, v46, v44, s[78:79]                 // 0000000115B0: D10000FF 013A592E
	v_cvt_f32_i32_e32 v144, v144                               // 0000000115B8: 7F200B90
	v_cvt_f32_i32_e32 v145, v145                               // 0000000115BC: 7F220B91
	v_cvt_f32_i32_e32 v146, v146                               // 0000000115C0: 7F240B92
	v_cvt_f32_i32_e32 v147, v147                               // 0000000115C4: 7F260B93
	v_cvt_f32_i32_e32 v148, v148                               // 0000000115C8: 7F280B94
	v_cvt_f32_i32_e32 v149, v149                               // 0000000115CC: 7F2A0B95
	v_cvt_f32_i32_e32 v150, v150                               // 0000000115D0: 7F2C0B96
	v_cvt_f32_i32_e32 v151, v151                               // 0000000115D4: 7F2E0B97
	v_cvt_f32_i32_e32 v152, v152                               // 0000000115D8: 7F300B98
	v_cvt_f32_i32_e32 v153, v153                               // 0000000115DC: 7F320B99
	v_cvt_f32_i32_e32 v154, v154                               // 0000000115E0: 7F340B9A
	v_cvt_f32_i32_e32 v155, v155                               // 0000000115E4: 7F360B9B
	v_cvt_f32_i32_e32 v156, v156                               // 0000000115E8: 7F380B9C
	v_cvt_f32_i32_e32 v157, v157                               // 0000000115EC: 7F3A0B9D
	v_cvt_f32_i32_e32 v158, v158                               // 0000000115F0: 7F3C0B9E
	v_cvt_f32_i32_e32 v159, v159                               // 0000000115F4: 7F3E0B9F
	v_mul_f32_e32 v144, v55, v144                              // 0000000115F8: 0B212137
	v_mul_f32_e32 v145, v55, v145                              // 0000000115FC: 0B232337
	v_mul_f32_e32 v146, v55, v146                              // 000000011600: 0B252537
	v_mul_f32_e32 v147, v55, v147                              // 000000011604: 0B272737
	v_mul_f32_e32 v148, v55, v148                              // 000000011608: 0B292937
	v_mul_f32_e32 v149, v55, v149                              // 00000001160C: 0B2B2B37
	v_mul_f32_e32 v150, v55, v150                              // 000000011610: 0B2D2D37
	v_mul_f32_e32 v151, v55, v151                              // 000000011614: 0B2F2F37
	v_mul_f32_e32 v152, v55, v152                              // 000000011618: 0B313137
	v_mul_f32_e32 v153, v55, v153                              // 00000001161C: 0B333337
	v_mul_f32_e32 v154, v55, v154                              // 000000011620: 0B353537
	v_mul_f32_e32 v155, v55, v155                              // 000000011624: 0B373737
	v_mul_f32_e32 v156, v55, v156                              // 000000011628: 0B393937
	v_mul_f32_e32 v157, v55, v157                              // 00000001162C: 0B3B3B37
	v_mul_f32_e32 v158, v55, v158                              // 000000011630: 0B3D3D37
	v_mul_f32_e32 v159, v55, v159                              // 000000011634: 0B3F3F37
	v_mul_f32_dpp v144, v248, v144 quad_perm:[0,0,0,0] row_mask:0xf bank_mask:0xf// 000000011638: 0B2120FA FF0000F8
	v_mul_f32_dpp v145, v248, v145 quad_perm:[1,1,1,1] row_mask:0xf bank_mask:0xf// 000000011640: 0B2322FA FF0055F8
	v_mul_f32_dpp v146, v248, v146 quad_perm:[2,2,2,2] row_mask:0xf bank_mask:0xf// 000000011648: 0B2524FA FF00AAF8
	v_mul_f32_dpp v147, v248, v147 quad_perm:[3,3,3,3] row_mask:0xf bank_mask:0xf// 000000011650: 0B2726FA FF00FFF8
	v_mul_f32_dpp v148, v249, v148 quad_perm:[0,0,0,0] row_mask:0xf bank_mask:0xf// 000000011658: 0B2928FA FF0000F9
	v_mul_f32_dpp v149, v249, v149 quad_perm:[1,1,1,1] row_mask:0xf bank_mask:0xf// 000000011660: 0B2B2AFA FF0055F9
	v_mul_f32_dpp v150, v249, v150 quad_perm:[2,2,2,2] row_mask:0xf bank_mask:0xf// 000000011668: 0B2D2CFA FF00AAF9
	v_mul_f32_dpp v151, v249, v151 quad_perm:[3,3,3,3] row_mask:0xf bank_mask:0xf// 000000011670: 0B2F2EFA FF00FFF9
	v_mul_f32_dpp v152, v250, v152 quad_perm:[0,0,0,0] row_mask:0xf bank_mask:0xf// 000000011678: 0B3130FA FF0000FA
	v_mul_f32_dpp v153, v250, v153 quad_perm:[1,1,1,1] row_mask:0xf bank_mask:0xf// 000000011680: 0B3332FA FF0055FA
	v_mul_f32_dpp v154, v250, v154 quad_perm:[2,2,2,2] row_mask:0xf bank_mask:0xf// 000000011688: 0B3534FA FF00AAFA
	v_mul_f32_dpp v155, v250, v155 quad_perm:[3,3,3,3] row_mask:0xf bank_mask:0xf// 000000011690: 0B3736FA FF00FFFA
	v_mul_f32_dpp v156, v251, v156 quad_perm:[0,0,0,0] row_mask:0xf bank_mask:0xf// 000000011698: 0B3938FA FF0000FB
	v_mul_f32_dpp v157, v251, v157 quad_perm:[1,1,1,1] row_mask:0xf bank_mask:0xf// 0000000116A0: 0B3B3AFA FF0055FB
	v_mul_f32_dpp v158, v251, v158 quad_perm:[2,2,2,2] row_mask:0xf bank_mask:0xf// 0000000116A8: 0B3D3CFA FF00AAFB
	v_mul_f32_dpp v159, v251, v159 quad_perm:[3,3,3,3] row_mask:0xf bank_mask:0xf// 0000000116B0: 0B3F3EFA FF00FFFB
	s_and_b32 s60, s72, 0xff                                   // 0000000116B8: 863CFF48 000000FF
	v_mov_b32_e32 v42, s60                                     // 0000000116C0: 7E54023C
	v_lshrrev_b32_e32 v240, 4, v0                              // 0000000116C4: 21E00084
	v_mul_i32_i24_e32 v240, 4, v240                            // 0000000116C8: 0DE1E084
	s_mul_i32 s60, s7, 16                                      // 0000000116CC: 923C9007
	v_add_u32_e32 v240, s60, v240                              // 0000000116D0: 69E1E03C
	v_add_u32_e32 v241, 1, v240                                // 0000000116D4: 69E3E081
	v_add_u32_e32 v242, 2, v240                                // 0000000116D8: 69E5E082
	v_add_u32_e32 v243, 3, v240                                // 0000000116DC: 69E7E083
	v_mov_b32_e32 v41, 0xff800000                              // 0000000116E0: 7E5202FF FF800000
	v_cmp_lt_u32_e64 s[40:41], v240, v42                       // 0000000116E8: D0C90028 000255F0
	v_add_u32_e32 v240, 64, v240                               // 0000000116F0: 69E1E0C0
	s_nop 0                                                    // 0000000116F4: BF800000
	v_cndmask_b32_e64 v144, v41, v144, s[40:41]                // 0000000116F8: D1000090 00A32129
	v_cmp_lt_u32_e64 s[40:41], v241, v42                       // 000000011700: D0C90028 000255F1
	v_add_u32_e32 v241, 64, v241                               // 000000011708: 69E3E2C0
	s_nop 0                                                    // 00000001170C: BF800000
	v_cndmask_b32_e64 v145, v41, v145, s[40:41]                // 000000011710: D1000091 00A32329
	v_cmp_lt_u32_e64 s[40:41], v242, v42                       // 000000011718: D0C90028 000255F2
	v_add_u32_e32 v242, 64, v242                               // 000000011720: 69E5E4C0
	s_nop 0                                                    // 000000011724: BF800000
	v_cndmask_b32_e64 v146, v41, v146, s[40:41]                // 000000011728: D1000092 00A32529
	v_cmp_lt_u32_e64 s[40:41], v243, v42                       // 000000011730: D0C90028 000255F3
	v_add_u32_e32 v243, 64, v243                               // 000000011738: 69E7E6C0
	s_nop 0                                                    // 00000001173C: BF800000
	v_cndmask_b32_e64 v147, v41, v147, s[40:41]                // 000000011740: D1000093 00A32729
	v_cmp_lt_u32_e64 s[40:41], v240, v42                       // 000000011748: D0C90028 000255F0
	v_add_u32_e32 v240, 64, v240                               // 000000011750: 69E1E0C0
	s_nop 0                                                    // 000000011754: BF800000
	v_cndmask_b32_e64 v148, v41, v148, s[40:41]                // 000000011758: D1000094 00A32929
	v_cmp_lt_u32_e64 s[40:41], v241, v42                       // 000000011760: D0C90028 000255F1
	v_add_u32_e32 v241, 64, v241                               // 000000011768: 69E3E2C0
	s_nop 0                                                    // 00000001176C: BF800000
	v_cndmask_b32_e64 v149, v41, v149, s[40:41]                // 000000011770: D1000095 00A32B29
	v_cmp_lt_u32_e64 s[40:41], v242, v42                       // 000000011778: D0C90028 000255F2
	v_add_u32_e32 v242, 64, v242                               // 000000011780: 69E5E4C0
	s_nop 0                                                    // 000000011784: BF800000
	v_cndmask_b32_e64 v150, v41, v150, s[40:41]                // 000000011788: D1000096 00A32D29
	v_cmp_lt_u32_e64 s[40:41], v243, v42                       // 000000011790: D0C90028 000255F3
	v_add_u32_e32 v243, 64, v243                               // 000000011798: 69E7E6C0
	s_nop 0                                                    // 00000001179C: BF800000
	v_cndmask_b32_e64 v151, v41, v151, s[40:41]                // 0000000117A0: D1000097 00A32F29
	v_cmp_lt_u32_e64 s[40:41], v240, v42                       // 0000000117A8: D0C90028 000255F0
	v_add_u32_e32 v240, 64, v240                               // 0000000117B0: 69E1E0C0
	s_nop 0                                                    // 0000000117B4: BF800000
	v_cndmask_b32_e64 v152, v41, v152, s[40:41]                // 0000000117B8: D1000098 00A33129
	v_cmp_lt_u32_e64 s[40:41], v241, v42                       // 0000000117C0: D0C90028 000255F1
	v_add_u32_e32 v241, 64, v241                               // 0000000117C8: 69E3E2C0
	s_nop 0                                                    // 0000000117CC: BF800000
	v_cndmask_b32_e64 v153, v41, v153, s[40:41]                // 0000000117D0: D1000099 00A33329
	v_cmp_lt_u32_e64 s[40:41], v242, v42                       // 0000000117D8: D0C90028 000255F2
	v_add_u32_e32 v242, 64, v242                               // 0000000117E0: 69E5E4C0
	s_nop 0                                                    // 0000000117E4: BF800000
	v_cndmask_b32_e64 v154, v41, v154, s[40:41]                // 0000000117E8: D100009A 00A33529
	v_cmp_lt_u32_e64 s[40:41], v243, v42                       // 0000000117F0: D0C90028 000255F3
	v_add_u32_e32 v243, 64, v243                               // 0000000117F8: 69E7E6C0
	s_nop 0                                                    // 0000000117FC: BF800000
	v_cndmask_b32_e64 v155, v41, v155, s[40:41]                // 000000011800: D100009B 00A33729
	v_cmp_lt_u32_e64 s[40:41], v240, v42                       // 000000011808: D0C90028 000255F0
	v_add_u32_e32 v240, 64, v240                               // 000000011810: 69E1E0C0
	s_nop 0                                                    // 000000011814: BF800000
	v_cndmask_b32_e64 v156, v41, v156, s[40:41]                // 000000011818: D100009C 00A33929
	v_cmp_lt_u32_e64 s[40:41], v241, v42                       // 000000011820: D0C90028 000255F1
	v_add_u32_e32 v241, 64, v241                               // 000000011828: 69E3E2C0
	s_nop 0                                                    // 00000001182C: BF800000
	v_cndmask_b32_e64 v157, v41, v157, s[40:41]                // 000000011830: D100009D 00A33B29
	v_cmp_lt_u32_e64 s[40:41], v242, v42                       // 000000011838: D0C90028 000255F2
	v_add_u32_e32 v242, 64, v242                               // 000000011840: 69E5E4C0
	s_nop 0                                                    // 000000011844: BF800000
	v_cndmask_b32_e64 v158, v41, v158, s[40:41]                // 000000011848: D100009E 00A33D29
	v_cmp_lt_u32_e64 s[40:41], v243, v42                       // 000000011850: D0C90028 000255F3
	v_add_u32_e32 v243, 64, v243                               // 000000011858: 69E7E6C0
	s_nop 0                                                    // 00000001185C: BF800000
	v_cndmask_b32_e64 v159, v41, v159, s[40:41]                // 000000011860: D100009F 00A33F29
	v_mov_b32_e32 v62, v144                                    // 000000011868: 7E7C0390
	v_max3_f32 v62, v144, v145, v62                            // 00000001186C: D1D3003E 04FB2390
	v_max3_f32 v62, v146, v147, v62                            // 000000011874: D1D3003E 04FB2792
	v_max3_f32 v62, v148, v149, v62                            // 00000001187C: D1D3003E 04FB2B94
	v_max3_f32 v62, v150, v151, v62                            // 000000011884: D1D3003E 04FB2F96
	v_max3_f32 v62, v152, v153, v62                            // 00000001188C: D1D3003E 04FB3398
	v_max3_f32 v62, v154, v155, v62                            // 000000011894: D1D3003E 04FB379A
	v_max3_f32 v62, v156, v157, v62                            // 00000001189C: D1D3003E 04FB3B9C
	v_max3_f32 v62, v158, v159, v62                            // 0000000118A4: D1D3003E 04FB3F9E
	ds_write_b32 v11, v62 offset:16896                         // 0000000118AC: D81A4200 00003E0B
	v_mul_f32_e32 v232, v64, v232                              // 0000000118B4: 0BD1D140
	v_mul_f32_e32 v233, v64, v233                              // 0000000118B8: 0BD3D340
	v_mul_f32_e32 v234, v64, v234                              // 0000000118BC: 0BD5D540
	v_mul_f32_e32 v235, v64, v235                              // 0000000118C0: 0BD7D740
	v_mul_f32_e32 v236, v64, v236                              // 0000000118C4: 0BD9D940
	v_mul_f32_e32 v237, v64, v237                              // 0000000118C8: 0BDBDB40
	v_mul_f32_e32 v238, v64, v238                              // 0000000118CC: 0BDDDD40
	v_mul_f32_e32 v239, v64, v239                              // 0000000118D0: 0BDFDF40
	s_waitcnt lgkmcnt(0)                                       // 0000000118D4: BF8CC07F
	s_barrier                                                  // 0000000118D8: BF8A0000
	ds_read_b32 v80, v10 offset:16896                          // 0000000118DC: D86C4200 5000000A
	ds_read_b32 v81, v10 offset:16960                          // 0000000118E4: D86C4240 5100000A
	ds_read_b32 v82, v10 offset:17024                          // 0000000118EC: D86C4280 5200000A
	ds_read_b32 v83, v10 offset:17088                          // 0000000118F4: D86C42C0 5300000A
	ds_read_b32 v84, v10 offset:17152                          // 0000000118FC: D86C4300 5400000A
	ds_read_b32 v85, v10 offset:17216                          // 000000011904: D86C4340 5500000A
	ds_read_b32 v86, v10 offset:17280                          // 00000001190C: D86C4380 5600000A
	ds_read_b32 v87, v10 offset:17344                          // 000000011914: D86C43C0 5700000A
	ds_read_b32 v88, v10 offset:17408                          // 00000001191C: D86C4400 5800000A
	ds_read_b32 v89, v10 offset:17472                          // 000000011924: D86C4440 5900000A
	ds_read_b32 v90, v10 offset:17536                          // 00000001192C: D86C4480 5A00000A
	ds_read_b32 v91, v10 offset:17600                          // 000000011934: D86C44C0 5B00000A
	ds_read_b32 v92, v10 offset:17664                          // 00000001193C: D86C4500 5C00000A
	ds_read_b32 v93, v10 offset:17728                          // 000000011944: D86C4540 5D00000A
	ds_read_b32 v94, v10 offset:17792                          // 00000001194C: D86C4580 5E00000A
	ds_read_b32 v95, v10 offset:17856                          // 000000011954: D86C45C0 5F00000A
	v_cvt_f32_i32_e32 v200, v200                               // 00000001195C: 7F900BC8
	v_cvt_f32_i32_e32 v201, v201                               // 000000011960: 7F920BC9
	v_cvt_f32_i32_e32 v202, v202                               // 000000011964: 7F940BCA
	v_cvt_f32_i32_e32 v203, v203                               // 000000011968: 7F960BCB
	v_cvt_f32_i32_e32 v204, v204                               // 00000001196C: 7F980BCC
	v_cvt_f32_i32_e32 v205, v205                               // 000000011970: 7F9A0BCD
	v_cvt_f32_i32_e32 v206, v206                               // 000000011974: 7F9C0BCE
	v_cvt_f32_i32_e32 v207, v207                               // 000000011978: 7F9E0BCF
	v_mul_f32_e32 v200, v59, v200                              // 00000001197C: 0B91913B
	v_mul_f32_e32 v201, v59, v201                              // 000000011980: 0B93933B
	v_mul_f32_e32 v202, v59, v202                              // 000000011984: 0B95953B
	v_mul_f32_e32 v203, v59, v203                              // 000000011988: 0B97973B
	v_mul_f32_e32 v204, v59, v204                              // 00000001198C: 0B99993B
	v_mul_f32_e32 v205, v59, v205                              // 000000011990: 0B9B9B3B
	v_mul_f32_e32 v206, v59, v206                              // 000000011994: 0B9D9D3B
	v_mul_f32_e32 v207, v59, v207                              // 000000011998: 0B9F9F3B
	s_waitcnt lgkmcnt(0)                                       // 00000001199C: BF8CC07F
	v_max3_f32 v62, v80, v81, v62                              // 0000000119A0: D1D3003E 04FAA350
	v_max3_f32 v62, v82, v83, v62                              // 0000000119A8: D1D3003E 04FAA752
	v_max3_f32 v62, v84, v85, v62                              // 0000000119B0: D1D3003E 04FAAB54
	v_max3_f32 v62, v86, v87, v62                              // 0000000119B8: D1D3003E 04FAAF56
	v_max3_f32 v62, v88, v89, v62                              // 0000000119C0: D1D3003E 04FAB358
	v_max3_f32 v62, v90, v91, v62                              // 0000000119C8: D1D3003E 04FAB75A
	v_max3_f32 v62, v92, v93, v62                              // 0000000119D0: D1D3003E 04FABB5C
	v_max3_f32 v62, v94, v95, v62                              // 0000000119D8: D1D3003E 04FABF5E
	v_mov_b32_e32 v41, 0xff800000                              // 0000000119E0: 7E5202FF FF800000
	v_cmp_eq_u32_e64 s[40:41], v41, v15                        // 0000000119E8: D0CA0028 00021F29
	s_nop 1                                                    // 0000000119F0: BF800001
	v_max_f32_e32 v18, v62, v15                                // 0000000119F4: 16241F3E
	v_mul_f32_e32 v67, s64, v18                                // 0000000119F8: 0A862440
	v_fma_f32 v144, v144, s64, -v67                            // 0000000119FC: D1CB0090 850C8190
	v_fma_f32 v145, v145, s64, -v67                            // 000000011A04: D1CB0091 850C8191
	v_fma_f32 v146, v146, s64, -v67                            // 000000011A0C: D1CB0092 850C8192
	v_fma_f32 v147, v147, s64, -v67                            // 000000011A14: D1CB0093 850C8193
	v_fma_f32 v148, v148, s64, -v67                            // 000000011A1C: D1CB0094 850C8194
	v_fma_f32 v149, v149, s64, -v67                            // 000000011A24: D1CB0095 850C8195
	v_fma_f32 v150, v150, s64, -v67                            // 000000011A2C: D1CB0096 850C8196
	v_fma_f32 v151, v151, s64, -v67                            // 000000011A34: D1CB0097 850C8197
	v_fma_f32 v152, v152, s64, -v67                            // 000000011A3C: D1CB0098 850C8198
	v_fma_f32 v153, v153, s64, -v67                            // 000000011A44: D1CB0099 850C8199
	v_fma_f32 v154, v154, s64, -v67                            // 000000011A4C: D1CB009A 850C819A
	v_fma_f32 v155, v155, s64, -v67                            // 000000011A54: D1CB009B 850C819B
	v_fma_f32 v156, v156, s64, -v67                            // 000000011A5C: D1CB009C 850C819C
	v_fma_f32 v157, v157, s64, -v67                            // 000000011A64: D1CB009D 850C819D
	v_fma_f32 v158, v158, s64, -v67                            // 000000011A6C: D1CB009E 850C819E
	v_fma_f32 v159, v159, s64, -v67                            // 000000011A74: D1CB009F 850C819F
	v_exp_f32_e32 v144, v144                                   // 000000011A7C: 7F204190
	v_exp_f32_e32 v145, v145                                   // 000000011A80: 7F224191
	v_exp_f32_e32 v146, v146                                   // 000000011A84: 7F244192
	v_exp_f32_e32 v147, v147                                   // 000000011A88: 7F264193
	v_exp_f32_e32 v148, v148                                   // 000000011A8C: 7F284194
	v_exp_f32_e32 v149, v149                                   // 000000011A90: 7F2A4195
	v_exp_f32_e32 v150, v150                                   // 000000011A94: 7F2C4196
	v_exp_f32_e32 v151, v151                                   // 000000011A98: 7F2E4197
	v_exp_f32_e32 v152, v152                                   // 000000011A9C: 7F304198
	v_exp_f32_e32 v153, v153                                   // 000000011AA0: 7F324199
	v_exp_f32_e32 v154, v154                                   // 000000011AA4: 7F34419A
	v_exp_f32_e32 v155, v155                                   // 000000011AA8: 7F36419B
	v_exp_f32_e32 v156, v156                                   // 000000011AAC: 7F38419C
	v_exp_f32_e32 v157, v157                                   // 000000011AB0: 7F3A419D
	v_exp_f32_e32 v158, v158                                   // 000000011AB4: 7F3C419E
	v_exp_f32_e32 v159, v159                                   // 000000011AB8: 7F3E419F
	v_mul_f32_dpp v240, v252, v144 quad_perm:[0,0,0,0] row_mask:0xf bank_mask:0xf// 000000011ABC: 0BE120FA FF0000FC
	v_mul_f32_dpp v241, v252, v145 quad_perm:[1,1,1,1] row_mask:0xf bank_mask:0xf// 000000011AC4: 0BE322FA FF0055FC
	v_mul_f32_dpp v242, v252, v146 quad_perm:[2,2,2,2] row_mask:0xf bank_mask:0xf// 000000011ACC: 0BE524FA FF00AAFC
	v_mul_f32_dpp v243, v252, v147 quad_perm:[3,3,3,3] row_mask:0xf bank_mask:0xf// 000000011AD4: 0BE726FA FF00FFFC
	v_mul_f32_dpp v244, v253, v148 quad_perm:[0,0,0,0] row_mask:0xf bank_mask:0xf// 000000011ADC: 0BE928FA FF0000FD
	v_mul_f32_dpp v245, v253, v149 quad_perm:[1,1,1,1] row_mask:0xf bank_mask:0xf// 000000011AE4: 0BEB2AFA FF0055FD
	v_mul_f32_dpp v246, v253, v150 quad_perm:[2,2,2,2] row_mask:0xf bank_mask:0xf// 000000011AEC: 0BED2CFA FF00AAFD
	v_mul_f32_dpp v247, v253, v151 quad_perm:[3,3,3,3] row_mask:0xf bank_mask:0xf// 000000011AF4: 0BEF2EFA FF00FFFD
	v_mul_f32_dpp v248, v254, v152 quad_perm:[0,0,0,0] row_mask:0xf bank_mask:0xf// 000000011AFC: 0BF130FA FF0000FE
	v_mul_f32_dpp v249, v254, v153 quad_perm:[1,1,1,1] row_mask:0xf bank_mask:0xf// 000000011B04: 0BF332FA FF0055FE
	v_mul_f32_dpp v250, v254, v154 quad_perm:[2,2,2,2] row_mask:0xf bank_mask:0xf// 000000011B0C: 0BF534FA FF00AAFE
	v_mul_f32_dpp v251, v254, v155 quad_perm:[3,3,3,3] row_mask:0xf bank_mask:0xf// 000000011B14: 0BF736FA FF00FFFE
	v_mul_f32_dpp v252, v255, v156 quad_perm:[0,0,0,0] row_mask:0xf bank_mask:0xf// 000000011B1C: 0BF938FA FF0000FF
	v_mul_f32_dpp v253, v255, v157 quad_perm:[1,1,1,1] row_mask:0xf bank_mask:0xf// 000000011B24: 0BFB3AFA FF0055FF
	v_mul_f32_dpp v254, v255, v158 quad_perm:[2,2,2,2] row_mask:0xf bank_mask:0xf// 000000011B2C: 0BFD3CFA FF00AAFF
	v_mul_f32_dpp v255, v255, v159 quad_perm:[3,3,3,3] row_mask:0xf bank_mask:0xf// 000000011B34: 0BFF3EFA FF00FFFF
	v_mov_b32_e32 v62, 0x358637bd                              // 000000011B3C: 7E7C02FF 358637BD
	v_max3_f32 v62, |v240|, |v241|, v62                        // 000000011B44: D1D3033E 04FBE3F0
	v_max3_f32 v62, |v242|, |v243|, v62                        // 000000011B4C: D1D3033E 04FBE7F2
	v_max3_f32 v62, |v244|, |v245|, v62                        // 000000011B54: D1D3033E 04FBEBF4
	v_max3_f32 v62, |v246|, |v247|, v62                        // 000000011B5C: D1D3033E 04FBEFF6
	v_max3_f32 v62, |v248|, |v249|, v62                        // 000000011B64: D1D3033E 04FBF3F8
	v_max3_f32 v62, |v250|, |v251|, v62                        // 000000011B6C: D1D3033E 04FBF7FA
	v_max3_f32 v62, |v252|, |v253|, v62                        // 000000011B74: D1D3033E 04FBFBFC
	v_max3_f32 v62, |v254|, |v255|, v62                        // 000000011B7C: D1D3033E 04FBFFFE
	ds_write_b32 v11, v62 offset:20992                         // 000000011B84: D81A5200 00003E0B
	v_sub_f32_e32 v64, v15, v18                                // 000000011B8C: 0480250F
	v_cndmask_b32_e64 v64, v64, 0, s[40:41]                    // 000000011B90: D1000040 00A10140
	v_mov_b32_e32 v15, v18                                     // 000000011B98: 7E1E0312
	v_mul_f32_e32 v64, s64, v64                                // 000000011B9C: 0A808040
	v_exp_f32_e32 v64, v64                                     // 000000011BA0: 7E804140
	s_waitcnt lgkmcnt(0)                                       // 000000011BA4: BF8CC07F
	s_barrier                                                  // 000000011BA8: BF8A0000
	ds_read_b32 v80, v10 offset:20992                          // 000000011BAC: D86C5200 5000000A
	ds_read_b32 v81, v10 offset:21056                          // 000000011BB4: D86C5240 5100000A
	ds_read_b32 v82, v10 offset:21120                          // 000000011BBC: D86C5280 5200000A
	ds_read_b32 v83, v10 offset:21184                          // 000000011BC4: D86C52C0 5300000A
	ds_read_b32 v84, v10 offset:21248                          // 000000011BCC: D86C5300 5400000A
	ds_read_b32 v85, v10 offset:21312                          // 000000011BD4: D86C5340 5500000A
	ds_read_b32 v86, v10 offset:21376                          // 000000011BDC: D86C5380 5600000A
	ds_read_b32 v87, v10 offset:21440                          // 000000011BE4: D86C53C0 5700000A
	ds_read_b32 v88, v10 offset:21504                          // 000000011BEC: D86C5400 5800000A
	ds_read_b32 v89, v10 offset:21568                          // 000000011BF4: D86C5440 5900000A
	ds_read_b32 v90, v10 offset:21632                          // 000000011BFC: D86C5480 5A00000A
	ds_read_b32 v91, v10 offset:21696                          // 000000011C04: D86C54C0 5B00000A
	ds_read_b32 v92, v10 offset:21760                          // 000000011C0C: D86C5500 5C00000A
	ds_read_b32 v93, v10 offset:21824                          // 000000011C14: D86C5540 5D00000A
	ds_read_b32 v94, v10 offset:21888                          // 000000011C1C: D86C5580 5E00000A
	ds_read_b32 v95, v10 offset:21952                          // 000000011C24: D86C55C0 5F00000A
	v_mul_f32_e32 v48, v64, v48                                // 000000011C2C: 0A606140
	v_mov_b32_e32 v18, v144                                    // 000000011C30: 7E240390
	v_add_f32_e32 v18, v145, v18                               // 000000011C34: 02242591
	v_add_f32_e32 v18, v146, v18                               // 000000011C38: 02242592
	v_add_f32_e32 v18, v147, v18                               // 000000011C3C: 02242593
	v_add_f32_e32 v18, v148, v18                               // 000000011C40: 02242594
	v_add_f32_e32 v18, v149, v18                               // 000000011C44: 02242595
	v_add_f32_e32 v18, v150, v18                               // 000000011C48: 02242596
	v_add_f32_e32 v18, v151, v18                               // 000000011C4C: 02242597
	v_add_f32_e32 v18, v152, v18                               // 000000011C50: 02242598
	v_add_f32_e32 v18, v153, v18                               // 000000011C54: 02242599
	v_add_f32_e32 v18, v154, v18                               // 000000011C58: 0224259A
	v_add_f32_e32 v18, v155, v18                               // 000000011C5C: 0224259B
	v_add_f32_e32 v18, v156, v18                               // 000000011C60: 0224259C
	v_add_f32_e32 v18, v157, v18                               // 000000011C64: 0224259D
	v_add_f32_e32 v18, v158, v18                               // 000000011C68: 0224259E
	v_add_f32_e32 v18, v159, v18                               // 000000011C6C: 0224259F
	v_add_f32_e32 v48, v18, v48                                // 000000011C70: 02606112
	s_waitcnt lgkmcnt(0)                                       // 000000011C74: BF8CC07F
	v_max3_f32 v62, |v80|, |v81|, v62                          // 000000011C78: D1D3033E 04FAA350
	v_max3_f32 v62, |v82|, |v83|, v62                          // 000000011C80: D1D3033E 04FAA752
	v_max3_f32 v62, |v84|, |v85|, v62                          // 000000011C88: D1D3033E 04FAAB54
	v_max3_f32 v62, |v86|, |v87|, v62                          // 000000011C90: D1D3033E 04FAAF56
	v_max3_f32 v62, |v88|, |v89|, v62                          // 000000011C98: D1D3033E 04FAB358
	v_max3_f32 v62, |v90|, |v91|, v62                          // 000000011CA0: D1D3033E 04FAB75A
	v_max3_f32 v62, |v92|, |v93|, v62                          // 000000011CA8: D1D3033E 04FABB5C
	v_max3_f32 v62, |v94|, |v95|, v62                          // 000000011CB0: D1D3033E 04FABF5E
	s_nop 2                                                    // 000000011CB8: BF800002
	v_rcp_f32_e32 v62, v62                                     // 000000011CBC: 7E7C453E
	s_nop 1                                                    // 000000011CC0: BF800001
	v_mul_f32_e32 v62, 0x42fe0000, v62                         // 000000011CC4: 0A7C7CFF 42FE0000
	v_mul_f32_e32 v144, v62, v240                              // 000000011CCC: 0B21E13E
	v_mul_f32_e32 v145, v62, v241                              // 000000011CD0: 0B23E33E
	v_mul_f32_e32 v146, v62, v242                              // 000000011CD4: 0B25E53E
	v_mul_f32_e32 v147, v62, v243                              // 000000011CD8: 0B27E73E
	v_mul_f32_e32 v148, v62, v244                              // 000000011CDC: 0B29E93E
	v_mul_f32_e32 v149, v62, v245                              // 000000011CE0: 0B2BEB3E
	v_mul_f32_e32 v150, v62, v246                              // 000000011CE4: 0B2DED3E
	v_mul_f32_e32 v151, v62, v247                              // 000000011CE8: 0B2FEF3E
	v_mul_f32_e32 v152, v62, v248                              // 000000011CEC: 0B31F13E
	v_mul_f32_e32 v153, v62, v249                              // 000000011CF0: 0B33F33E
	v_mul_f32_e32 v154, v62, v250                              // 000000011CF4: 0B35F53E
	v_mul_f32_e32 v155, v62, v251                              // 000000011CF8: 0B37F73E
	v_mul_f32_e32 v156, v62, v252                              // 000000011CFC: 0B39F93E
	v_mul_f32_e32 v157, v62, v253                              // 000000011D00: 0B3BFB3E
	v_mul_f32_e32 v158, v62, v254                              // 000000011D04: 0B3DFD3E
	v_mul_f32_e32 v159, v62, v255                              // 000000011D08: 0B3FFF3E
	v_cvt_i32_f32_e32 v144, v144                               // 000000011D0C: 7F201190
	v_cvt_i32_f32_e32 v145, v145                               // 000000011D10: 7F221191
	v_cvt_i32_f32_e32 v146, v146                               // 000000011D14: 7F241192
	v_cvt_i32_f32_e32 v147, v147                               // 000000011D18: 7F261193
	v_cvt_i32_f32_e32 v148, v148                               // 000000011D1C: 7F281194
	v_cvt_i32_f32_e32 v149, v149                               // 000000011D20: 7F2A1195
	v_cvt_i32_f32_e32 v150, v150                               // 000000011D24: 7F2C1196
	v_cvt_i32_f32_e32 v151, v151                               // 000000011D28: 7F2E1197
	v_cvt_i32_f32_e32 v152, v152                               // 000000011D2C: 7F301198
	v_cvt_i32_f32_e32 v153, v153                               // 000000011D30: 7F321199
	v_cvt_i32_f32_e32 v154, v154                               // 000000011D34: 7F34119A
	v_cvt_i32_f32_e32 v155, v155                               // 000000011D38: 7F36119B
	v_cvt_i32_f32_e32 v156, v156                               // 000000011D3C: 7F38119C
	v_cvt_i32_f32_e32 v157, v157                               // 000000011D40: 7F3A119D
	v_cvt_i32_f32_e32 v158, v158                               // 000000011D44: 7F3C119E
	v_cvt_i32_f32_e32 v159, v159                               // 000000011D48: 7F3E119F
	v_perm_b32 v144, v145, v144, s53                           // 000000011D4C: D1ED0090 00D72191
	v_perm_b32 v144, v146, v144, s54                           // 000000011D54: D1ED0090 00DB2192
	v_perm_b32 v144, v147, v144, s55                           // 000000011D5C: D1ED0090 00DF2193
	v_perm_b32 v145, v149, v148, s53                           // 000000011D64: D1ED0091 00D72995
	v_perm_b32 v145, v150, v145, s54                           // 000000011D6C: D1ED0091 00DB2396
	v_perm_b32 v145, v151, v145, s55                           // 000000011D74: D1ED0091 00DF2397
	v_perm_b32 v146, v153, v152, s53                           // 000000011D7C: D1ED0092 00D73199
	v_perm_b32 v146, v154, v146, s54                           // 000000011D84: D1ED0092 00DB259A
	v_perm_b32 v146, v155, v146, s55                           // 000000011D8C: D1ED0092 00DF259B
	v_perm_b32 v147, v157, v156, s53                           // 000000011D94: D1ED0093 00D7399D
	v_perm_b32 v147, v158, v147, s54                           // 000000011D9C: D1ED0093 00DB279E
	v_perm_b32 v147, v159, v147, s55                           // 000000011DA4: D1ED0093 00DF279F
	ds_write_b32 v13, v144 offset:29184                        // 000000011DAC: D81A7200 0000900D
	ds_write_b32 v13, v145 offset:30208                        // 000000011DB4: D81A7600 0000910D
	ds_write_b32 v13, v146 offset:31232                        // 000000011DBC: D81A7A00 0000920D
	ds_write_b32 v13, v147 offset:32256                        // 000000011DC4: D81A7E00 0000930D
	v_add_f32_e32 v232, v232, v200                             // 000000011DCC: 03D191E8
	v_add_f32_e32 v233, v233, v201                             // 000000011DD0: 03D393E9
	v_add_f32_e32 v234, v234, v202                             // 000000011DD4: 03D595EA
	v_add_f32_e32 v235, v235, v203                             // 000000011DD8: 03D797EB
	v_add_f32_e32 v236, v236, v204                             // 000000011DDC: 03D999EC
	v_add_f32_e32 v237, v237, v205                             // 000000011DE0: 03DB9BED
	v_add_f32_e32 v238, v238, v206                             // 000000011DE4: 03DD9DEE
	v_add_f32_e32 v239, v239, v207                             // 000000011DE8: 03DF9FEF
	v_rcp_f32_e32 v59, v62                                     // 000000011DEC: 7E76453E
	s_waitcnt lgkmcnt(0)                                       // 000000011DF0: BF8CC07F
	s_barrier                                                  // 000000011DF4: BF8A0000
	ds_read_b64 v[144:145], v12 offset:29184                   // 000000011DF8: D8EC7200 9000000C
	ds_read_b64 v[146:147], v12 offset:29312                   // 000000011E00: D8EC7280 9200000C
	ds_read_b64 v[148:149], v12 offset:30208                   // 000000011E08: D8EC7600 9400000C
	ds_read_b64 v[150:151], v12 offset:30336                   // 000000011E10: D8EC7680 9600000C
	ds_read_b64 v[152:153], v12 offset:31232                   // 000000011E18: D8EC7A00 9800000C
	ds_read_b64 v[154:155], v12 offset:31360                   // 000000011E20: D8EC7A80 9A00000C
	ds_read_b64 v[156:157], v12 offset:32256                   // 000000011E28: D8EC7E00 9C00000C
	ds_read_b64 v[158:159], v12 offset:32384                   // 000000011E30: D8EC7E80 9E00000C
	s_waitcnt vmcnt(0)                                         // 000000011E38: BF8C0F70
	s_barrier                                                  // 000000011E3C: BF8A0000
	v_mfma_i32_16x16x32_i8 v[192:195], a[96:97], v[128:129], 0 // 000000011E40: D3D700C0 0A030160
	v_mfma_i32_16x16x32_i8 v[192:195], a[98:99], v[130:131], v[192:195]// 000000011E48: D3D700C0 0F030562
	v_mfma_i32_16x16x32_i8 v[192:195], a[100:101], v[132:133], v[192:195]// 000000011E50: D3D700C0 0F030964
	v_mfma_i32_16x16x32_i8 v[192:195], a[102:103], v[134:135], v[192:195]// 000000011E58: D3D700C0 0F030D66
	v_mfma_i32_16x16x32_i8 v[192:195], a[104:105], v[136:137], v[192:195]// 000000011E60: D3D700C0 0F031168
	v_mfma_i32_16x16x32_i8 v[192:195], a[106:107], v[138:139], v[192:195]// 000000011E68: D3D700C0 0F03156A
	v_mfma_i32_16x16x32_i8 v[192:195], a[108:109], v[140:141], v[192:195]// 000000011E70: D3D700C0 0F03196C
	v_mfma_i32_16x16x32_i8 v[192:195], a[110:111], v[142:143], v[192:195]// 000000011E78: D3D700C0 0F031D6E
	v_mfma_i32_16x16x32_i8 v[196:199], a[112:113], v[128:129], 0// 000000011E80: D3D700C4 0A030170
	v_mfma_i32_16x16x32_i8 v[196:199], a[114:115], v[130:131], v[196:199]// 000000011E88: D3D700C4 0F130572
	v_mfma_i32_16x16x32_i8 v[196:199], a[116:117], v[132:133], v[196:199]// 000000011E90: D3D700C4 0F130974
	v_mfma_i32_16x16x32_i8 v[196:199], a[118:119], v[134:135], v[196:199]// 000000011E98: D3D700C4 0F130D76
	v_mfma_i32_16x16x32_i8 v[196:199], a[120:121], v[136:137], v[196:199]// 000000011EA0: D3D700C4 0F131178
	v_mfma_i32_16x16x32_i8 v[196:199], a[122:123], v[138:139], v[196:199]// 000000011EA8: D3D700C4 0F13157A
	v_mfma_i32_16x16x32_i8 v[196:199], a[124:125], v[140:141], v[196:199]// 000000011EB0: D3D700C4 0F13197C
	v_mfma_i32_16x16x32_i8 v[196:199], a[126:127], v[142:143], v[196:199]// 000000011EB8: D3D700C4 0F131D7E
	v_mfma_i32_16x16x32_i8 v[200:203], a[96:97], v[144:145], 0 // 000000011EC0: D3D700C8 0A032160
	v_mfma_i32_16x16x32_i8 v[200:203], a[98:99], v[146:147], v[200:203]// 000000011EC8: D3D700C8 0F232562
	v_mfma_i32_16x16x32_i8 v[200:203], a[100:101], v[148:149], v[200:203]// 000000011ED0: D3D700C8 0F232964
	v_mfma_i32_16x16x32_i8 v[200:203], a[102:103], v[150:151], v[200:203]// 000000011ED8: D3D700C8 0F232D66
	v_mfma_i32_16x16x32_i8 v[200:203], a[104:105], v[152:153], v[200:203]// 000000011EE0: D3D700C8 0F233168
	v_mfma_i32_16x16x32_i8 v[200:203], a[106:107], v[154:155], v[200:203]// 000000011EE8: D3D700C8 0F23356A
	v_mfma_i32_16x16x32_i8 v[200:203], a[108:109], v[156:157], v[200:203]// 000000011EF0: D3D700C8 0F23396C
	v_mfma_i32_16x16x32_i8 v[200:203], a[110:111], v[158:159], v[200:203]// 000000011EF8: D3D700C8 0F233D6E
	v_mfma_i32_16x16x32_i8 v[204:207], a[112:113], v[144:145], 0// 000000011F00: D3D700CC 0A032170
	v_mfma_i32_16x16x32_i8 v[204:207], a[114:115], v[146:147], v[204:207]// 000000011F08: D3D700CC 0F332572
	v_mfma_i32_16x16x32_i8 v[204:207], a[116:117], v[148:149], v[204:207]// 000000011F10: D3D700CC 0F332974
	v_mfma_i32_16x16x32_i8 v[204:207], a[118:119], v[150:151], v[204:207]// 000000011F18: D3D700CC 0F332D76
	v_mfma_i32_16x16x32_i8 v[204:207], a[120:121], v[152:153], v[204:207]// 000000011F20: D3D700CC 0F333178
	v_mfma_i32_16x16x32_i8 v[204:207], a[122:123], v[154:155], v[204:207]// 000000011F28: D3D700CC 0F33357A
	v_mfma_i32_16x16x32_i8 v[204:207], a[124:125], v[156:157], v[204:207]// 000000011F30: D3D700CC 0F33397C
	v_mfma_i32_16x16x32_i8 v[204:207], a[126:127], v[158:159], v[204:207]// 000000011F38: D3D700CC 0F333D7E
	s_nop 4                                                    // 000000011F40: BF800004
	s_branch label_3F52                                        // 000000011F44: BF820000

0000000000011f48 <label_3F52>:
	s_mov_b32 s60, 0xa0                                        // 000000011F48: BEBC00FF 000000A0
	s_cmp_eq_i32 s88, s60                                      // 000000011F50: BF003C58
	s_cbranch_scc1 label_40EB                                  // 000000011F54: BF850195
	v_mul_f32_e32 v224, v63, v224                              // 000000011F58: 0BC1C13F
	v_mul_f32_e32 v225, v63, v225                              // 000000011F5C: 0BC3C33F
	v_mul_f32_e32 v226, v63, v226                              // 000000011F60: 0BC5C53F
	v_mul_f32_e32 v227, v63, v227                              // 000000011F64: 0BC7C73F
	v_mul_f32_e32 v228, v63, v228                              // 000000011F68: 0BC9C93F
	v_mul_f32_e32 v229, v63, v229                              // 000000011F6C: 0BCBCB3F
	v_mul_f32_e32 v230, v63, v230                              // 000000011F70: 0BCDCD3F
	v_mul_f32_e32 v231, v63, v231                              // 000000011F74: 0BCFCF3F
	v_cvt_f32_i32_e32 v192, v192                               // 000000011F78: 7F800BC0
	v_cvt_f32_i32_e32 v193, v193                               // 000000011F7C: 7F820BC1
	v_cvt_f32_i32_e32 v194, v194                               // 000000011F80: 7F840BC2
	v_cvt_f32_i32_e32 v195, v195                               // 000000011F84: 7F860BC3
	v_cvt_f32_i32_e32 v196, v196                               // 000000011F88: 7F880BC4
	v_cvt_f32_i32_e32 v197, v197                               // 000000011F8C: 7F8A0BC5
	v_cvt_f32_i32_e32 v198, v198                               // 000000011F90: 7F8C0BC6
	v_cvt_f32_i32_e32 v199, v199                               // 000000011F94: 7F8E0BC7
	v_mul_f32_e32 v192, v58, v192                              // 000000011F98: 0B81813A
	v_mul_f32_e32 v193, v58, v193                              // 000000011F9C: 0B83833A
	v_mul_f32_e32 v194, v58, v194                              // 000000011FA0: 0B85853A
	v_mul_f32_e32 v195, v58, v195                              // 000000011FA4: 0B87873A
	v_mul_f32_e32 v196, v58, v196                              // 000000011FA8: 0B89893A
	v_mul_f32_e32 v197, v58, v197                              // 000000011FAC: 0B8B8B3A
	v_mul_f32_e32 v198, v58, v198                              // 000000011FB0: 0B8D8D3A
	v_mul_f32_e32 v199, v58, v199                              // 000000011FB4: 0B8F8F3A
	v_add_f32_e32 v224, v224, v192                             // 000000011FB8: 03C181E0
	v_add_f32_e32 v225, v225, v193                             // 000000011FBC: 03C383E1
	v_add_f32_e32 v226, v226, v194                             // 000000011FC0: 03C585E2
	v_add_f32_e32 v227, v227, v195                             // 000000011FC4: 03C787E3
	v_add_f32_e32 v228, v228, v196                             // 000000011FC8: 03C989E4
	v_add_f32_e32 v229, v229, v197                             // 000000011FCC: 03CB8BE5
	v_add_f32_e32 v230, v230, v198                             // 000000011FD0: 03CD8DE6
	v_add_f32_e32 v231, v231, v199                             // 000000011FD4: 03CF8FE7
	ds_write_b32 v11, v47 offset:16896                         // 000000011FD8: D81A4200 00002F0B
	s_waitcnt lgkmcnt(0)                                       // 000000011FE0: BF8CC07F
	s_barrier                                                  // 000000011FE4: BF8A0000
	ds_read_b32 v80, v10 offset:16896                          // 000000011FE8: D86C4200 5000000A
	ds_read_b32 v81, v10 offset:16960                          // 000000011FF0: D86C4240 5100000A
	ds_read_b32 v82, v10 offset:17024                          // 000000011FF8: D86C4280 5200000A
	ds_read_b32 v83, v10 offset:17088                          // 000000012000: D86C42C0 5300000A
	ds_read_b32 v84, v10 offset:17152                          // 000000012008: D86C4300 5400000A
	ds_read_b32 v85, v10 offset:17216                          // 000000012010: D86C4340 5500000A
	ds_read_b32 v86, v10 offset:17280                          // 000000012018: D86C4380 5600000A
	ds_read_b32 v87, v10 offset:17344                          // 000000012020: D86C43C0 5700000A
	ds_read_b32 v88, v10 offset:17408                          // 000000012028: D86C4400 5800000A
	ds_read_b32 v89, v10 offset:17472                          // 000000012030: D86C4440 5900000A
	ds_read_b32 v90, v10 offset:17536                          // 000000012038: D86C4480 5A00000A
	ds_read_b32 v91, v10 offset:17600                          // 000000012040: D86C44C0 5B00000A
	ds_read_b32 v92, v10 offset:17664                          // 000000012048: D86C4500 5C00000A
	ds_read_b32 v93, v10 offset:17728                          // 000000012050: D86C4540 5D00000A
	ds_read_b32 v94, v10 offset:17792                          // 000000012058: D86C4580 5E00000A
	ds_read_b32 v95, v10 offset:17856                          // 000000012060: D86C45C0 5F00000A
	s_waitcnt lgkmcnt(0)                                       // 000000012068: BF8CC07F
	v_mov_b32_e32 v47, 0                                       // 00000001206C: 7E5E0280
	v_add_f32_e32 v47, v80, v47                                // 000000012070: 025E5F50
	v_add_f32_e32 v47, v81, v47                                // 000000012074: 025E5F51
	v_add_f32_e32 v47, v82, v47                                // 000000012078: 025E5F52
	v_add_f32_e32 v47, v83, v47                                // 00000001207C: 025E5F53
	v_add_f32_e32 v47, v84, v47                                // 000000012080: 025E5F54
	v_add_f32_e32 v47, v85, v47                                // 000000012084: 025E5F55
	v_add_f32_e32 v47, v86, v47                                // 000000012088: 025E5F56
	v_add_f32_e32 v47, v87, v47                                // 00000001208C: 025E5F57
	v_add_f32_e32 v47, v88, v47                                // 000000012090: 025E5F58
	v_add_f32_e32 v47, v89, v47                                // 000000012094: 025E5F59
	v_add_f32_e32 v47, v90, v47                                // 000000012098: 025E5F5A
	v_add_f32_e32 v47, v91, v47                                // 00000001209C: 025E5F5B
	v_add_f32_e32 v47, v92, v47                                // 0000000120A0: 025E5F5C
	v_add_f32_e32 v47, v93, v47                                // 0000000120A4: 025E5F5D
	v_add_f32_e32 v47, v94, v47                                // 0000000120A8: 025E5F5E
	v_add_f32_e32 v47, v95, v47                                // 0000000120AC: 025E5F5F
	s_nop 1                                                    // 0000000120B0: BF800001
	v_rcp_f32_e32 v47, v47                                     // 0000000120B4: 7E5E452F
	s_nop 1                                                    // 0000000120B8: BF800001
	v_mul_f32_e32 v224, v47, v224                              // 0000000120BC: 0BC1C12F
	v_mul_f32_e32 v225, v47, v225                              // 0000000120C0: 0BC3C32F
	v_mul_f32_e32 v226, v47, v226                              // 0000000120C4: 0BC5C52F
	v_mul_f32_e32 v227, v47, v227                              // 0000000120C8: 0BC7C72F
	v_mul_f32_e32 v228, v47, v228                              // 0000000120CC: 0BC9C92F
	v_mul_f32_e32 v229, v47, v229                              // 0000000120D0: 0BCBCB2F
	v_mul_f32_e32 v230, v47, v230                              // 0000000120D4: 0BCDCD2F
	v_mul_f32_e32 v231, v47, v231                              // 0000000120D8: 0BCFCF2F
	v_cmp_u_f32_e64 s[40:41], v224, v224                       // 0000000120DC: D0480028 0003C1E0
	v_add3_u32 v21, v224, v24, 1                               // 0000000120E4: D1FF0015 020631E0
	v_cndmask_b32_e64 v41, v21, v23, s[40:41]                  // 0000000120EC: D1000029 00A22F15
	v_cmp_u_f32_e64 s[40:41], v225, v225                       // 0000000120F4: D0480028 0003C3E1
	v_add3_u32 v21, v225, v24, 1                               // 0000000120FC: D1FF0015 020631E1
	v_cndmask_b32_e64 v42, v21, v23, s[40:41]                  // 000000012104: D100002A 00A22F15
	v_perm_b32 v224, v42, v41, s52                             // 00000001210C: D1ED00E0 00D2532A
	v_cmp_u_f32_e64 s[40:41], v226, v226                       // 000000012114: D0480028 0003C5E2
	v_add3_u32 v21, v226, v24, 1                               // 00000001211C: D1FF0015 020631E2
	v_cndmask_b32_e64 v41, v21, v23, s[40:41]                  // 000000012124: D1000029 00A22F15
	v_cmp_u_f32_e64 s[40:41], v227, v227                       // 00000001212C: D0480028 0003C7E3
	v_add3_u32 v21, v227, v24, 1                               // 000000012134: D1FF0015 020631E3
	v_cndmask_b32_e64 v42, v21, v23, s[40:41]                  // 00000001213C: D100002A 00A22F15
	v_perm_b32 v225, v42, v41, s52                             // 000000012144: D1ED00E1 00D2532A
	v_cmp_u_f32_e64 s[40:41], v228, v228                       // 00000001214C: D0480028 0003C9E4
	v_add3_u32 v21, v228, v24, 1                               // 000000012154: D1FF0015 020631E4
	v_cndmask_b32_e64 v41, v21, v23, s[40:41]                  // 00000001215C: D1000029 00A22F15
	v_cmp_u_f32_e64 s[40:41], v229, v229                       // 000000012164: D0480028 0003CBE5
	v_add3_u32 v21, v229, v24, 1                               // 00000001216C: D1FF0015 020631E5
	v_cndmask_b32_e64 v42, v21, v23, s[40:41]                  // 000000012174: D100002A 00A22F15
	v_perm_b32 v226, v42, v41, s52                             // 00000001217C: D1ED00E2 00D2532A
	v_cmp_u_f32_e64 s[40:41], v230, v230                       // 000000012184: D0480028 0003CDE6
	v_add3_u32 v21, v230, v24, 1                               // 00000001218C: D1FF0015 020631E6
	v_cndmask_b32_e64 v41, v21, v23, s[40:41]                  // 000000012194: D1000029 00A22F15
	v_cmp_u_f32_e64 s[40:41], v231, v231                       // 00000001219C: D0480028 0003CFE7
	v_add3_u32 v21, v231, v24, 1                               // 0000000121A4: D1FF0015 020631E7
	v_cndmask_b32_e64 v42, v21, v23, s[40:41]                  // 0000000121AC: D100002A 00A22F15
	v_perm_b32 v227, v42, v41, s52                             // 0000000121B4: D1ED00E3 00D2532A
	s_nop 1                                                    // 0000000121BC: BF800001
	v_lshrrev_b32_e32 v41, 4, v0                               // 0000000121C0: 20520084
	v_mul_i32_i24_e32 v45, 34, v41                             // 0000000121C4: 0C5A52A2
	v_and_b32_e32 v41, 15, v0                                  // 0000000121C8: 2652008F
	v_mul_i32_i24_e32 v42, 2, v41                              // 0000000121CC: 0C545282
	v_add_u32_e32 v45, v42, v45                                // 0000000121D0: 685A5B2A
	s_mul_i32 s60, s7, 0x88                                    // 0000000121D4: 923CFF07 00000088
	v_add_u32_e32 v45, s60, v45                                // 0000000121DC: 685A5A3C
	v_lshlrev_b32_e32 v45, 2, v45                              // 0000000121E0: 245A5A82
	ds_write_b64 v45, v[224:225] offset:41472                  // 0000000121E4: D89AA200 0000E02D
	ds_write_b64 v45, v[226:227] offset:43648                  // 0000000121EC: D89AAA80 0000E22D
	v_lshrrev_b32_e32 v41, 1, v0                               // 0000000121F4: 20520081
	v_mul_i32_i24_e32 v45, 34, v41                             // 0000000121F8: 0C5A52A2
	v_and_b32_e32 v42, 1, v0                                   // 0000000121FC: 26540081
	v_add_u32_e32 v45, v42, v45                                // 000000012200: 685A5B2A
	s_mul_i32 s60, s7, 2                                       // 000000012204: 923C8207
	v_add_u32_e32 v45, s60, v45                                // 000000012208: 685A5A3C
	v_lshlrev_b32_e32 v45, 2, v45                              // 00000001220C: 245A5A82
	s_waitcnt lgkmcnt(0)                                       // 000000012210: BF8CC07F
	s_barrier                                                  // 000000012214: BF8A0000
	ds_read_b32 v224, v45 offset:41472                         // 000000012218: D86CA200 E000002D
	ds_read_b32 v225, v45 offset:41504                         // 000000012220: D86CA220 E100002D
	ds_read_b32 v226, v45 offset:41536                         // 000000012228: D86CA240 E200002D
	ds_read_b32 v227, v45 offset:41568                         // 000000012230: D86CA260 E300002D
	s_mul_i32 s60, s7, 0x100                                   // 000000012238: 923CFF07 00000100
	v_lshlrev_b32_e32 v41, 2, v0                               // 000000012240: 24520082
	v_add_u32_e64 v41, v41, s60                                // 000000012244: D1340029 00007929
	s_waitcnt lgkmcnt(0)                                       // 00000001224C: BF8CC07F
	buffer_store_dword v224, v41, s[8:11], 0 offen             // 000000012250: E0701000 8002E029
	buffer_store_dword v225, v41, s[8:11], 0 offen offset:1024 // 000000012258: E0701400 8002E129
	s_add_u32 s8, s75, s8                                      // 000000012260: 8008084B
	s_addc_u32 s9, 0, s9                                       // 000000012264: 82090980
	buffer_store_dword v226, v41, s[8:11], 0 offen             // 000000012268: E0701000 8002E229
	buffer_store_dword v227, v41, s[8:11], 0 offen offset:1024 // 000000012270: E0701400 8002E329
	s_add_u32 s8, s75, s8                                      // 000000012278: 8008084B
	s_addc_u32 s9, 0, s9                                       // 00000001227C: 82090980
	v_mul_f32_e32 v232, v64, v232                              // 000000012280: 0BD1D140
	v_mul_f32_e32 v233, v64, v233                              // 000000012284: 0BD3D340
	v_mul_f32_e32 v234, v64, v234                              // 000000012288: 0BD5D540
	v_mul_f32_e32 v235, v64, v235                              // 00000001228C: 0BD7D740
	v_mul_f32_e32 v236, v64, v236                              // 000000012290: 0BD9D940
	v_mul_f32_e32 v237, v64, v237                              // 000000012294: 0BDBDB40
	v_mul_f32_e32 v238, v64, v238                              // 000000012298: 0BDDDD40
	v_mul_f32_e32 v239, v64, v239                              // 00000001229C: 0BDFDF40
	v_cvt_f32_i32_e32 v200, v200                               // 0000000122A0: 7F900BC8
	v_cvt_f32_i32_e32 v201, v201                               // 0000000122A4: 7F920BC9
	v_cvt_f32_i32_e32 v202, v202                               // 0000000122A8: 7F940BCA
	v_cvt_f32_i32_e32 v203, v203                               // 0000000122AC: 7F960BCB
	v_cvt_f32_i32_e32 v204, v204                               // 0000000122B0: 7F980BCC
	v_cvt_f32_i32_e32 v205, v205                               // 0000000122B4: 7F9A0BCD
	v_cvt_f32_i32_e32 v206, v206                               // 0000000122B8: 7F9C0BCE
	v_cvt_f32_i32_e32 v207, v207                               // 0000000122BC: 7F9E0BCF
	v_mul_f32_e32 v200, v59, v200                              // 0000000122C0: 0B91913B
	v_mul_f32_e32 v201, v59, v201                              // 0000000122C4: 0B93933B
	v_mul_f32_e32 v202, v59, v202                              // 0000000122C8: 0B95953B
	v_mul_f32_e32 v203, v59, v203                              // 0000000122CC: 0B97973B
	v_mul_f32_e32 v204, v59, v204                              // 0000000122D0: 0B99993B
	v_mul_f32_e32 v205, v59, v205                              // 0000000122D4: 0B9B9B3B
	v_mul_f32_e32 v206, v59, v206                              // 0000000122D8: 0B9D9D3B
	v_mul_f32_e32 v207, v59, v207                              // 0000000122DC: 0B9F9F3B
	v_add_f32_e32 v232, v232, v200                             // 0000000122E0: 03D191E8
	v_add_f32_e32 v233, v233, v201                             // 0000000122E4: 03D393E9
	v_add_f32_e32 v234, v234, v202                             // 0000000122E8: 03D595EA
	v_add_f32_e32 v235, v235, v203                             // 0000000122EC: 03D797EB
	v_add_f32_e32 v236, v236, v204                             // 0000000122F0: 03D999EC
	v_add_f32_e32 v237, v237, v205                             // 0000000122F4: 03DB9BED
	v_add_f32_e32 v238, v238, v206                             // 0000000122F8: 03DD9DEE
	v_add_f32_e32 v239, v239, v207                             // 0000000122FC: 03DF9FEF
	ds_write_b32 v11, v48 offset:16896                         // 000000012300: D81A4200 0000300B
	s_waitcnt lgkmcnt(0)                                       // 000000012308: BF8CC07F
	s_barrier                                                  // 00000001230C: BF8A0000
	ds_read_b32 v80, v10 offset:16896                          // 000000012310: D86C4200 5000000A
	ds_read_b32 v81, v10 offset:16960                          // 000000012318: D86C4240 5100000A
	ds_read_b32 v82, v10 offset:17024                          // 000000012320: D86C4280 5200000A
	ds_read_b32 v83, v10 offset:17088                          // 000000012328: D86C42C0 5300000A
	ds_read_b32 v84, v10 offset:17152                          // 000000012330: D86C4300 5400000A
	ds_read_b32 v85, v10 offset:17216                          // 000000012338: D86C4340 5500000A
	ds_read_b32 v86, v10 offset:17280                          // 000000012340: D86C4380 5600000A
	ds_read_b32 v87, v10 offset:17344                          // 000000012348: D86C43C0 5700000A
	ds_read_b32 v88, v10 offset:17408                          // 000000012350: D86C4400 5800000A
	ds_read_b32 v89, v10 offset:17472                          // 000000012358: D86C4440 5900000A
	ds_read_b32 v90, v10 offset:17536                          // 000000012360: D86C4480 5A00000A
	ds_read_b32 v91, v10 offset:17600                          // 000000012368: D86C44C0 5B00000A
	ds_read_b32 v92, v10 offset:17664                          // 000000012370: D86C4500 5C00000A
	ds_read_b32 v93, v10 offset:17728                          // 000000012378: D86C4540 5D00000A
	ds_read_b32 v94, v10 offset:17792                          // 000000012380: D86C4580 5E00000A
	ds_read_b32 v95, v10 offset:17856                          // 000000012388: D86C45C0 5F00000A
	s_waitcnt lgkmcnt(0)                                       // 000000012390: BF8CC07F
	v_mov_b32_e32 v48, 0                                       // 000000012394: 7E600280
	v_add_f32_e32 v48, v80, v48                                // 000000012398: 02606150
	v_add_f32_e32 v48, v81, v48                                // 00000001239C: 02606151
	v_add_f32_e32 v48, v82, v48                                // 0000000123A0: 02606152
	v_add_f32_e32 v48, v83, v48                                // 0000000123A4: 02606153
	v_add_f32_e32 v48, v84, v48                                // 0000000123A8: 02606154
	v_add_f32_e32 v48, v85, v48                                // 0000000123AC: 02606155
	v_add_f32_e32 v48, v86, v48                                // 0000000123B0: 02606156
	v_add_f32_e32 v48, v87, v48                                // 0000000123B4: 02606157
	v_add_f32_e32 v48, v88, v48                                // 0000000123B8: 02606158
	v_add_f32_e32 v48, v89, v48                                // 0000000123BC: 02606159
	v_add_f32_e32 v48, v90, v48                                // 0000000123C0: 0260615A
	v_add_f32_e32 v48, v91, v48                                // 0000000123C4: 0260615B
	v_add_f32_e32 v48, v92, v48                                // 0000000123C8: 0260615C
	v_add_f32_e32 v48, v93, v48                                // 0000000123CC: 0260615D
	v_add_f32_e32 v48, v94, v48                                // 0000000123D0: 0260615E
	v_add_f32_e32 v48, v95, v48                                // 0000000123D4: 0260615F
	s_nop 1                                                    // 0000000123D8: BF800001
	v_rcp_f32_e32 v48, v48                                     // 0000000123DC: 7E604530
	s_nop 1                                                    // 0000000123E0: BF800001
	v_mul_f32_e32 v232, v48, v232                              // 0000000123E4: 0BD1D130
	v_mul_f32_e32 v233, v48, v233                              // 0000000123E8: 0BD3D330
	v_mul_f32_e32 v234, v48, v234                              // 0000000123EC: 0BD5D530
	v_mul_f32_e32 v235, v48, v235                              // 0000000123F0: 0BD7D730
	v_mul_f32_e32 v236, v48, v236                              // 0000000123F4: 0BD9D930
	v_mul_f32_e32 v237, v48, v237                              // 0000000123F8: 0BDBDB30
	v_mul_f32_e32 v238, v48, v238                              // 0000000123FC: 0BDDDD30
	v_mul_f32_e32 v239, v48, v239                              // 000000012400: 0BDFDF30
	v_cmp_u_f32_e64 s[40:41], v232, v232                       // 000000012404: D0480028 0003D1E8
	v_add3_u32 v21, v232, v24, 1                               // 00000001240C: D1FF0015 020631E8
	v_cndmask_b32_e64 v41, v21, v23, s[40:41]                  // 000000012414: D1000029 00A22F15
	v_cmp_u_f32_e64 s[40:41], v233, v233                       // 00000001241C: D0480028 0003D3E9
	v_add3_u32 v21, v233, v24, 1                               // 000000012424: D1FF0015 020631E9
	v_cndmask_b32_e64 v42, v21, v23, s[40:41]                  // 00000001242C: D100002A 00A22F15
	v_perm_b32 v232, v42, v41, s52                             // 000000012434: D1ED00E8 00D2532A
	v_cmp_u_f32_e64 s[40:41], v234, v234                       // 00000001243C: D0480028 0003D5EA
	v_add3_u32 v21, v234, v24, 1                               // 000000012444: D1FF0015 020631EA
	v_cndmask_b32_e64 v41, v21, v23, s[40:41]                  // 00000001244C: D1000029 00A22F15
	v_cmp_u_f32_e64 s[40:41], v235, v235                       // 000000012454: D0480028 0003D7EB
	v_add3_u32 v21, v235, v24, 1                               // 00000001245C: D1FF0015 020631EB
	v_cndmask_b32_e64 v42, v21, v23, s[40:41]                  // 000000012464: D100002A 00A22F15
	v_perm_b32 v233, v42, v41, s52                             // 00000001246C: D1ED00E9 00D2532A
	v_cmp_u_f32_e64 s[40:41], v236, v236                       // 000000012474: D0480028 0003D9EC
	v_add3_u32 v21, v236, v24, 1                               // 00000001247C: D1FF0015 020631EC
	v_cndmask_b32_e64 v41, v21, v23, s[40:41]                  // 000000012484: D1000029 00A22F15
	v_cmp_u_f32_e64 s[40:41], v237, v237                       // 00000001248C: D0480028 0003DBED
	v_add3_u32 v21, v237, v24, 1                               // 000000012494: D1FF0015 020631ED
	v_cndmask_b32_e64 v42, v21, v23, s[40:41]                  // 00000001249C: D100002A 00A22F15
	v_perm_b32 v234, v42, v41, s52                             // 0000000124A4: D1ED00EA 00D2532A
	v_cmp_u_f32_e64 s[40:41], v238, v238                       // 0000000124AC: D0480028 0003DDEE
	v_add3_u32 v21, v238, v24, 1                               // 0000000124B4: D1FF0015 020631EE
	v_cndmask_b32_e64 v41, v21, v23, s[40:41]                  // 0000000124BC: D1000029 00A22F15
	v_cmp_u_f32_e64 s[40:41], v239, v239                       // 0000000124C4: D0480028 0003DFEF
	v_add3_u32 v21, v239, v24, 1                               // 0000000124CC: D1FF0015 020631EF
	v_cndmask_b32_e64 v42, v21, v23, s[40:41]                  // 0000000124D4: D100002A 00A22F15
	v_perm_b32 v235, v42, v41, s52                             // 0000000124DC: D1ED00EB 00D2532A
	s_nop 1                                                    // 0000000124E4: BF800001
	v_lshrrev_b32_e32 v41, 4, v0                               // 0000000124E8: 20520084
	v_mul_i32_i24_e32 v45, 34, v41                             // 0000000124EC: 0C5A52A2
	v_and_b32_e32 v41, 15, v0                                  // 0000000124F0: 2652008F
	v_mul_i32_i24_e32 v42, 2, v41                              // 0000000124F4: 0C545282
	v_add_u32_e32 v45, v42, v45                                // 0000000124F8: 685A5B2A
	s_mul_i32 s60, s7, 0x88                                    // 0000000124FC: 923CFF07 00000088
	v_add_u32_e32 v45, s60, v45                                // 000000012504: 685A5A3C
	v_lshlrev_b32_e32 v45, 2, v45                              // 000000012508: 245A5A82
	ds_write_b64 v45, v[232:233] offset:41472                  // 00000001250C: D89AA200 0000E82D
	ds_write_b64 v45, v[234:235] offset:43648                  // 000000012514: D89AAA80 0000EA2D
	v_lshrrev_b32_e32 v41, 1, v0                               // 00000001251C: 20520081
	v_mul_i32_i24_e32 v45, 34, v41                             // 000000012520: 0C5A52A2
	v_and_b32_e32 v42, 1, v0                                   // 000000012524: 26540081
	v_add_u32_e32 v45, v42, v45                                // 000000012528: 685A5B2A
	s_mul_i32 s60, s7, 2                                       // 00000001252C: 923C8207
	v_add_u32_e32 v45, s60, v45                                // 000000012530: 685A5A3C
	v_lshlrev_b32_e32 v45, 2, v45                              // 000000012534: 245A5A82
	s_waitcnt lgkmcnt(0)                                       // 000000012538: BF8CC07F
	s_barrier                                                  // 00000001253C: BF8A0000
	ds_read_b32 v232, v45 offset:41472                         // 000000012540: D86CA200 E800002D
	ds_read_b32 v233, v45 offset:41504                         // 000000012548: D86CA220 E900002D
	ds_read_b32 v234, v45 offset:41536                         // 000000012550: D86CA240 EA00002D
	ds_read_b32 v235, v45 offset:41568                         // 000000012558: D86CA260 EB00002D
	s_mul_i32 s60, s7, 0x100                                   // 000000012560: 923CFF07 00000100
	v_lshlrev_b32_e32 v41, 2, v0                               // 000000012568: 24520082
	v_add_u32_e64 v41, v41, s60                                // 00000001256C: D1340029 00007929
	s_waitcnt lgkmcnt(0)                                       // 000000012574: BF8CC07F
	buffer_store_dword v232, v41, s[8:11], 0 offen             // 000000012578: E0701000 8002E829
	buffer_store_dword v233, v41, s[8:11], 0 offen offset:1024 // 000000012580: E0701400 8002E929
	s_add_u32 s8, s75, s8                                      // 000000012588: 8008084B
	s_addc_u32 s9, 0, s9                                       // 00000001258C: 82090980
	buffer_store_dword v234, v41, s[8:11], 0 offen             // 000000012590: E0701000 8002EA29
	buffer_store_dword v235, v41, s[8:11], 0 offen offset:1024 // 000000012598: E0701400 8002EB29
	s_add_u32 s8, s75, s8                                      // 0000000125A0: 8008084B
	s_addc_u32 s9, 0, s9                                       // 0000000125A4: 82090980
	s_branch label_4276                                        // 0000000125A8: BF82018B

00000000000125ac <label_40EB>:
	v_mul_f32_e32 v224, v63, v224                              // 0000000125AC: 0BC1C13F
	v_mul_f32_e32 v225, v63, v225                              // 0000000125B0: 0BC3C33F
	v_mul_f32_e32 v226, v63, v226                              // 0000000125B4: 0BC5C53F
	v_mul_f32_e32 v227, v63, v227                              // 0000000125B8: 0BC7C73F
	v_mul_f32_e32 v228, v63, v228                              // 0000000125BC: 0BC9C93F
	v_mul_f32_e32 v229, v63, v229                              // 0000000125C0: 0BCBCB3F
	v_mul_f32_e32 v230, v63, v230                              // 0000000125C4: 0BCDCD3F
	v_mul_f32_e32 v231, v63, v231                              // 0000000125C8: 0BCFCF3F
	v_cvt_f32_i32_e32 v192, v192                               // 0000000125CC: 7F800BC0
	v_cvt_f32_i32_e32 v193, v193                               // 0000000125D0: 7F820BC1
	v_cvt_f32_i32_e32 v194, v194                               // 0000000125D4: 7F840BC2
	v_cvt_f32_i32_e32 v195, v195                               // 0000000125D8: 7F860BC3
	v_cvt_f32_i32_e32 v196, v196                               // 0000000125DC: 7F880BC4
	v_cvt_f32_i32_e32 v197, v197                               // 0000000125E0: 7F8A0BC5
	v_cvt_f32_i32_e32 v198, v198                               // 0000000125E4: 7F8C0BC6
	v_cvt_f32_i32_e32 v199, v199                               // 0000000125E8: 7F8E0BC7
	v_mul_f32_e32 v192, v58, v192                              // 0000000125EC: 0B81813A
	v_mul_f32_e32 v193, v58, v193                              // 0000000125F0: 0B83833A
	v_mul_f32_e32 v194, v58, v194                              // 0000000125F4: 0B85853A
	v_mul_f32_e32 v195, v58, v195                              // 0000000125F8: 0B87873A
	v_mul_f32_e32 v196, v58, v196                              // 0000000125FC: 0B89893A
	v_mul_f32_e32 v197, v58, v197                              // 000000012600: 0B8B8B3A
	v_mul_f32_e32 v198, v58, v198                              // 000000012604: 0B8D8D3A
	v_mul_f32_e32 v199, v58, v199                              // 000000012608: 0B8F8F3A
	v_add_f32_e32 v224, v224, v192                             // 00000001260C: 03C181E0
	v_add_f32_e32 v225, v225, v193                             // 000000012610: 03C383E1
	v_add_f32_e32 v226, v226, v194                             // 000000012614: 03C585E2
	v_add_f32_e32 v227, v227, v195                             // 000000012618: 03C787E3
	v_add_f32_e32 v228, v228, v196                             // 00000001261C: 03C989E4
	v_add_f32_e32 v229, v229, v197                             // 000000012620: 03CB8BE5
	v_add_f32_e32 v230, v230, v198                             // 000000012624: 03CD8DE6
	v_add_f32_e32 v231, v231, v199                             // 000000012628: 03CF8FE7
	ds_write_b32 v11, v47 offset:16896                         // 00000001262C: D81A4200 00002F0B
	s_waitcnt lgkmcnt(0)                                       // 000000012634: BF8CC07F
	s_barrier                                                  // 000000012638: BF8A0000
	ds_read_b32 v80, v10 offset:16896                          // 00000001263C: D86C4200 5000000A
	ds_read_b32 v81, v10 offset:16960                          // 000000012644: D86C4240 5100000A
	ds_read_b32 v82, v10 offset:17024                          // 00000001264C: D86C4280 5200000A
	ds_read_b32 v83, v10 offset:17088                          // 000000012654: D86C42C0 5300000A
	ds_read_b32 v84, v10 offset:17152                          // 00000001265C: D86C4300 5400000A
	ds_read_b32 v85, v10 offset:17216                          // 000000012664: D86C4340 5500000A
	ds_read_b32 v86, v10 offset:17280                          // 00000001266C: D86C4380 5600000A
	ds_read_b32 v87, v10 offset:17344                          // 000000012674: D86C43C0 5700000A
	ds_read_b32 v88, v10 offset:17408                          // 00000001267C: D86C4400 5800000A
	ds_read_b32 v89, v10 offset:17472                          // 000000012684: D86C4440 5900000A
	ds_read_b32 v90, v10 offset:17536                          // 00000001268C: D86C4480 5A00000A
	ds_read_b32 v91, v10 offset:17600                          // 000000012694: D86C44C0 5B00000A
	ds_read_b32 v92, v10 offset:17664                          // 00000001269C: D86C4500 5C00000A
	ds_read_b32 v93, v10 offset:17728                          // 0000000126A4: D86C4540 5D00000A
	ds_read_b32 v94, v10 offset:17792                          // 0000000126AC: D86C4580 5E00000A
	ds_read_b32 v95, v10 offset:17856                          // 0000000126B4: D86C45C0 5F00000A
	s_waitcnt lgkmcnt(0)                                       // 0000000126BC: BF8CC07F
	v_mov_b32_e32 v47, 0                                       // 0000000126C0: 7E5E0280
	v_add_f32_e32 v47, v80, v47                                // 0000000126C4: 025E5F50
	v_add_f32_e32 v47, v81, v47                                // 0000000126C8: 025E5F51
	v_add_f32_e32 v47, v82, v47                                // 0000000126CC: 025E5F52
	v_add_f32_e32 v47, v83, v47                                // 0000000126D0: 025E5F53
	v_add_f32_e32 v47, v84, v47                                // 0000000126D4: 025E5F54
	v_add_f32_e32 v47, v85, v47                                // 0000000126D8: 025E5F55
	v_add_f32_e32 v47, v86, v47                                // 0000000126DC: 025E5F56
	v_add_f32_e32 v47, v87, v47                                // 0000000126E0: 025E5F57
	v_add_f32_e32 v47, v88, v47                                // 0000000126E4: 025E5F58
	v_add_f32_e32 v47, v89, v47                                // 0000000126E8: 025E5F59
	v_add_f32_e32 v47, v90, v47                                // 0000000126EC: 025E5F5A
	v_add_f32_e32 v47, v91, v47                                // 0000000126F0: 025E5F5B
	v_add_f32_e32 v47, v92, v47                                // 0000000126F4: 025E5F5C
	v_add_f32_e32 v47, v93, v47                                // 0000000126F8: 025E5F5D
	v_add_f32_e32 v47, v94, v47                                // 0000000126FC: 025E5F5E
	v_add_f32_e32 v47, v95, v47                                // 000000012700: 025E5F5F
	s_nop 1                                                    // 000000012704: BF800001
	v_rcp_f32_e32 v47, v47                                     // 000000012708: 7E5E452F
	s_nop 1                                                    // 00000001270C: BF800001
	v_mul_f32_e32 v224, v47, v224                              // 000000012710: 0BC1C12F
	v_mul_f32_e32 v225, v47, v225                              // 000000012714: 0BC3C32F
	v_mul_f32_e32 v226, v47, v226                              // 000000012718: 0BC5C52F
	v_mul_f32_e32 v227, v47, v227                              // 00000001271C: 0BC7C72F
	v_mul_f32_e32 v228, v47, v228                              // 000000012720: 0BC9C92F
	v_mul_f32_e32 v229, v47, v229                              // 000000012724: 0BCBCB2F
	v_mul_f32_e32 v230, v47, v230                              // 000000012728: 0BCDCD2F
	v_mul_f32_e32 v231, v47, v231                              // 00000001272C: 0BCFCF2F
	v_cmp_u_f32_e64 s[40:41], v224, v224                       // 000000012730: D0480028 0003C1E0
	v_add3_u32 v21, v224, v24, 1                               // 000000012738: D1FF0015 020631E0
	v_cndmask_b32_e64 v41, v21, v23, s[40:41]                  // 000000012740: D1000029 00A22F15
	v_cmp_u_f32_e64 s[40:41], v225, v225                       // 000000012748: D0480028 0003C3E1
	v_add3_u32 v21, v225, v24, 1                               // 000000012750: D1FF0015 020631E1
	v_cndmask_b32_e64 v42, v21, v23, s[40:41]                  // 000000012758: D100002A 00A22F15
	v_perm_b32 v224, v42, v41, s52                             // 000000012760: D1ED00E0 00D2532A
	v_cmp_u_f32_e64 s[40:41], v226, v226                       // 000000012768: D0480028 0003C5E2
	v_add3_u32 v21, v226, v24, 1                               // 000000012770: D1FF0015 020631E2
	v_cndmask_b32_e64 v41, v21, v23, s[40:41]                  // 000000012778: D1000029 00A22F15
	v_cmp_u_f32_e64 s[40:41], v227, v227                       // 000000012780: D0480028 0003C7E3
	v_add3_u32 v21, v227, v24, 1                               // 000000012788: D1FF0015 020631E3
	v_cndmask_b32_e64 v42, v21, v23, s[40:41]                  // 000000012790: D100002A 00A22F15
	v_perm_b32 v225, v42, v41, s52                             // 000000012798: D1ED00E1 00D2532A
	v_cmp_u_f32_e64 s[40:41], v228, v228                       // 0000000127A0: D0480028 0003C9E4
	v_add3_u32 v21, v228, v24, 1                               // 0000000127A8: D1FF0015 020631E4
	v_cndmask_b32_e64 v41, v21, v23, s[40:41]                  // 0000000127B0: D1000029 00A22F15
	v_cmp_u_f32_e64 s[40:41], v229, v229                       // 0000000127B8: D0480028 0003CBE5
	v_add3_u32 v21, v229, v24, 1                               // 0000000127C0: D1FF0015 020631E5
	v_cndmask_b32_e64 v42, v21, v23, s[40:41]                  // 0000000127C8: D100002A 00A22F15
	v_perm_b32 v226, v42, v41, s52                             // 0000000127D0: D1ED00E2 00D2532A
	v_cmp_u_f32_e64 s[40:41], v230, v230                       // 0000000127D8: D0480028 0003CDE6
	v_add3_u32 v21, v230, v24, 1                               // 0000000127E0: D1FF0015 020631E6
	v_cndmask_b32_e64 v41, v21, v23, s[40:41]                  // 0000000127E8: D1000029 00A22F15
	v_cmp_u_f32_e64 s[40:41], v231, v231                       // 0000000127F0: D0480028 0003CFE7
	v_add3_u32 v21, v231, v24, 1                               // 0000000127F8: D1FF0015 020631E7
	v_cndmask_b32_e64 v42, v21, v23, s[40:41]                  // 000000012800: D100002A 00A22F15
	v_perm_b32 v227, v42, v41, s52                             // 000000012808: D1ED00E3 00D2532A
	s_nop 1                                                    // 000000012810: BF800001
	v_lshrrev_b32_e32 v41, 4, v0                               // 000000012814: 20520084
	v_mul_i32_i24_e32 v45, 34, v41                             // 000000012818: 0C5A52A2
	v_and_b32_e32 v41, 15, v0                                  // 00000001281C: 2652008F
	v_mul_i32_i24_e32 v42, 2, v41                              // 000000012820: 0C545282
	v_add_u32_e32 v45, v42, v45                                // 000000012824: 685A5B2A
	s_mul_i32 s60, s7, 0x88                                    // 000000012828: 923CFF07 00000088
	v_add_u32_e32 v45, s60, v45                                // 000000012830: 685A5A3C
	v_lshlrev_b32_e32 v45, 2, v45                              // 000000012834: 245A5A82
	ds_write_b64 v45, v[224:225] offset:41472                  // 000000012838: D89AA200 0000E02D
	ds_write_b64 v45, v[226:227] offset:43648                  // 000000012840: D89AAA80 0000E22D
	v_lshrrev_b32_e32 v41, 1, v0                               // 000000012848: 20520081
	v_mul_i32_i24_e32 v45, 34, v41                             // 00000001284C: 0C5A52A2
	v_and_b32_e32 v42, 1, v0                                   // 000000012850: 26540081
	v_add_u32_e32 v45, v42, v45                                // 000000012854: 685A5B2A
	s_mul_i32 s60, s7, 2                                       // 000000012858: 923C8207
	v_add_u32_e32 v45, s60, v45                                // 00000001285C: 685A5A3C
	v_lshlrev_b32_e32 v45, 2, v45                              // 000000012860: 245A5A82
	s_waitcnt lgkmcnt(0)                                       // 000000012864: BF8CC07F
	s_barrier                                                  // 000000012868: BF8A0000
	ds_read_b32 v224, v45 offset:41472                         // 00000001286C: D86CA200 E000002D
	ds_read_b32 v225, v45 offset:41504                         // 000000012874: D86CA220 E100002D
	ds_read_b32 v226, v45 offset:41536                         // 00000001287C: D86CA240 E200002D
	ds_read_b32 v227, v45 offset:41568                         // 000000012884: D86CA260 E300002D
	s_mul_i32 s60, s7, 0x100                                   // 00000001288C: 923CFF07 00000100
	v_lshlrev_b32_e32 v41, 2, v0                               // 000000012894: 24520082
	v_add_u32_e64 v41, v41, s60                                // 000000012898: D1340029 00007929
	s_waitcnt lgkmcnt(0)                                       // 0000000128A0: BF8CC07F
	buffer_store_dword v224, v41, s[8:11], 0 offen             // 0000000128A4: E0701000 8002E029
	buffer_store_dword v225, v41, s[8:11], 0 offen offset:1024 // 0000000128AC: E0701400 8002E129
	s_add_u32 s8, s75, s8                                      // 0000000128B4: 8008084B
	s_addc_u32 s9, 0, s9                                       // 0000000128B8: 82090980
	buffer_store_dword v226, v41, s[8:11], 0 offen             // 0000000128BC: E0701000 8002E229
	buffer_store_dword v227, v41, s[8:11], 0 offen offset:1024 // 0000000128C4: E0701400 8002E329
	s_add_u32 s8, s75, s8                                      // 0000000128CC: 8008084B
	s_addc_u32 s9, 0, s9                                       // 0000000128D0: 82090980
	v_mul_f32_e32 v232, v64, v232                              // 0000000128D4: 0BD1D140
	v_mul_f32_e32 v233, v64, v233                              // 0000000128D8: 0BD3D340
	v_mul_f32_e32 v234, v64, v234                              // 0000000128DC: 0BD5D540
	v_mul_f32_e32 v235, v64, v235                              // 0000000128E0: 0BD7D740
	v_mul_f32_e32 v236, v64, v236                              // 0000000128E4: 0BD9D940
	v_mul_f32_e32 v237, v64, v237                              // 0000000128E8: 0BDBDB40
	v_mul_f32_e32 v238, v64, v238                              // 0000000128EC: 0BDDDD40
	v_mul_f32_e32 v239, v64, v239                              // 0000000128F0: 0BDFDF40
	v_cvt_f32_i32_e32 v200, v200                               // 0000000128F4: 7F900BC8
	v_cvt_f32_i32_e32 v201, v201                               // 0000000128F8: 7F920BC9
	v_cvt_f32_i32_e32 v202, v202                               // 0000000128FC: 7F940BCA
	v_cvt_f32_i32_e32 v203, v203                               // 000000012900: 7F960BCB
	v_cvt_f32_i32_e32 v204, v204                               // 000000012904: 7F980BCC
	v_cvt_f32_i32_e32 v205, v205                               // 000000012908: 7F9A0BCD
	v_cvt_f32_i32_e32 v206, v206                               // 00000001290C: 7F9C0BCE
	v_cvt_f32_i32_e32 v207, v207                               // 000000012910: 7F9E0BCF
	v_mul_f32_e32 v200, v59, v200                              // 000000012914: 0B91913B
	v_mul_f32_e32 v201, v59, v201                              // 000000012918: 0B93933B
	v_mul_f32_e32 v202, v59, v202                              // 00000001291C: 0B95953B
	v_mul_f32_e32 v203, v59, v203                              // 000000012920: 0B97973B
	v_mul_f32_e32 v204, v59, v204                              // 000000012924: 0B99993B
	v_mul_f32_e32 v205, v59, v205                              // 000000012928: 0B9B9B3B
	v_mul_f32_e32 v206, v59, v206                              // 00000001292C: 0B9D9D3B
	v_mul_f32_e32 v207, v59, v207                              // 000000012930: 0B9F9F3B
	v_add_f32_e32 v232, v232, v200                             // 000000012934: 03D191E8
	v_add_f32_e32 v233, v233, v201                             // 000000012938: 03D393E9
	v_add_f32_e32 v234, v234, v202                             // 00000001293C: 03D595EA
	v_add_f32_e32 v235, v235, v203                             // 000000012940: 03D797EB
	v_add_f32_e32 v236, v236, v204                             // 000000012944: 03D999EC
	v_add_f32_e32 v237, v237, v205                             // 000000012948: 03DB9BED
	v_add_f32_e32 v238, v238, v206                             // 00000001294C: 03DD9DEE
	v_add_f32_e32 v239, v239, v207                             // 000000012950: 03DF9FEF
	ds_write_b32 v11, v48 offset:16896                         // 000000012954: D81A4200 0000300B
	s_waitcnt lgkmcnt(0)                                       // 00000001295C: BF8CC07F
	s_barrier                                                  // 000000012960: BF8A0000
	ds_read_b32 v80, v10 offset:16896                          // 000000012964: D86C4200 5000000A
	ds_read_b32 v81, v10 offset:16960                          // 00000001296C: D86C4240 5100000A
	ds_read_b32 v82, v10 offset:17024                          // 000000012974: D86C4280 5200000A
	ds_read_b32 v83, v10 offset:17088                          // 00000001297C: D86C42C0 5300000A
	ds_read_b32 v84, v10 offset:17152                          // 000000012984: D86C4300 5400000A
	ds_read_b32 v85, v10 offset:17216                          // 00000001298C: D86C4340 5500000A
	ds_read_b32 v86, v10 offset:17280                          // 000000012994: D86C4380 5600000A
	ds_read_b32 v87, v10 offset:17344                          // 00000001299C: D86C43C0 5700000A
	ds_read_b32 v88, v10 offset:17408                          // 0000000129A4: D86C4400 5800000A
	ds_read_b32 v89, v10 offset:17472                          // 0000000129AC: D86C4440 5900000A
	ds_read_b32 v90, v10 offset:17536                          // 0000000129B4: D86C4480 5A00000A
	ds_read_b32 v91, v10 offset:17600                          // 0000000129BC: D86C44C0 5B00000A
	ds_read_b32 v92, v10 offset:17664                          // 0000000129C4: D86C4500 5C00000A
	ds_read_b32 v93, v10 offset:17728                          // 0000000129CC: D86C4540 5D00000A
	ds_read_b32 v94, v10 offset:17792                          // 0000000129D4: D86C4580 5E00000A
	ds_read_b32 v95, v10 offset:17856                          // 0000000129DC: D86C45C0 5F00000A
	s_waitcnt lgkmcnt(0)                                       // 0000000129E4: BF8CC07F
	v_mov_b32_e32 v48, 0                                       // 0000000129E8: 7E600280
	v_add_f32_e32 v48, v80, v48                                // 0000000129EC: 02606150
	v_add_f32_e32 v48, v81, v48                                // 0000000129F0: 02606151
	v_add_f32_e32 v48, v82, v48                                // 0000000129F4: 02606152
	v_add_f32_e32 v48, v83, v48                                // 0000000129F8: 02606153
	v_add_f32_e32 v48, v84, v48                                // 0000000129FC: 02606154
	v_add_f32_e32 v48, v85, v48                                // 000000012A00: 02606155
	v_add_f32_e32 v48, v86, v48                                // 000000012A04: 02606156
	v_add_f32_e32 v48, v87, v48                                // 000000012A08: 02606157
	v_add_f32_e32 v48, v88, v48                                // 000000012A0C: 02606158
	v_add_f32_e32 v48, v89, v48                                // 000000012A10: 02606159
	v_add_f32_e32 v48, v90, v48                                // 000000012A14: 0260615A
	v_add_f32_e32 v48, v91, v48                                // 000000012A18: 0260615B
	v_add_f32_e32 v48, v92, v48                                // 000000012A1C: 0260615C
	v_add_f32_e32 v48, v93, v48                                // 000000012A20: 0260615D
	v_add_f32_e32 v48, v94, v48                                // 000000012A24: 0260615E
	v_add_f32_e32 v48, v95, v48                                // 000000012A28: 0260615F
	s_nop 1                                                    // 000000012A2C: BF800001
	v_rcp_f32_e32 v48, v48                                     // 000000012A30: 7E604530
	s_nop 1                                                    // 000000012A34: BF800001
	v_mul_f32_e32 v232, v48, v232                              // 000000012A38: 0BD1D130
	v_mul_f32_e32 v233, v48, v233                              // 000000012A3C: 0BD3D330
	v_mul_f32_e32 v234, v48, v234                              // 000000012A40: 0BD5D530
	v_mul_f32_e32 v235, v48, v235                              // 000000012A44: 0BD7D730
	v_mul_f32_e32 v236, v48, v236                              // 000000012A48: 0BD9D930
	v_mul_f32_e32 v237, v48, v237                              // 000000012A4C: 0BDBDB30
	v_mul_f32_e32 v238, v48, v238                              // 000000012A50: 0BDDDD30
	v_mul_f32_e32 v239, v48, v239                              // 000000012A54: 0BDFDF30
	v_cmp_u_f32_e64 s[40:41], v232, v232                       // 000000012A58: D0480028 0003D1E8
	v_add3_u32 v21, v232, v24, 1                               // 000000012A60: D1FF0015 020631E8
	v_cndmask_b32_e64 v41, v21, v23, s[40:41]                  // 000000012A68: D1000029 00A22F15
	v_cmp_u_f32_e64 s[40:41], v233, v233                       // 000000012A70: D0480028 0003D3E9
	v_add3_u32 v21, v233, v24, 1                               // 000000012A78: D1FF0015 020631E9
	v_cndmask_b32_e64 v42, v21, v23, s[40:41]                  // 000000012A80: D100002A 00A22F15
	v_perm_b32 v232, v42, v41, s52                             // 000000012A88: D1ED00E8 00D2532A
	v_cmp_u_f32_e64 s[40:41], v234, v234                       // 000000012A90: D0480028 0003D5EA
	v_add3_u32 v21, v234, v24, 1                               // 000000012A98: D1FF0015 020631EA
	v_cndmask_b32_e64 v41, v21, v23, s[40:41]                  // 000000012AA0: D1000029 00A22F15
	v_cmp_u_f32_e64 s[40:41], v235, v235                       // 000000012AA8: D0480028 0003D7EB
	v_add3_u32 v21, v235, v24, 1                               // 000000012AB0: D1FF0015 020631EB
	v_cndmask_b32_e64 v42, v21, v23, s[40:41]                  // 000000012AB8: D100002A 00A22F15
	v_perm_b32 v233, v42, v41, s52                             // 000000012AC0: D1ED00E9 00D2532A
	v_cmp_u_f32_e64 s[40:41], v236, v236                       // 000000012AC8: D0480028 0003D9EC
	v_add3_u32 v21, v236, v24, 1                               // 000000012AD0: D1FF0015 020631EC
	v_cndmask_b32_e64 v41, v21, v23, s[40:41]                  // 000000012AD8: D1000029 00A22F15
	v_cmp_u_f32_e64 s[40:41], v237, v237                       // 000000012AE0: D0480028 0003DBED
	v_add3_u32 v21, v237, v24, 1                               // 000000012AE8: D1FF0015 020631ED
	v_cndmask_b32_e64 v42, v21, v23, s[40:41]                  // 000000012AF0: D100002A 00A22F15
	v_perm_b32 v234, v42, v41, s52                             // 000000012AF8: D1ED00EA 00D2532A
	v_cmp_u_f32_e64 s[40:41], v238, v238                       // 000000012B00: D0480028 0003DDEE
	v_add3_u32 v21, v238, v24, 1                               // 000000012B08: D1FF0015 020631EE
	v_cndmask_b32_e64 v41, v21, v23, s[40:41]                  // 000000012B10: D1000029 00A22F15
	v_cmp_u_f32_e64 s[40:41], v239, v239                       // 000000012B18: D0480028 0003DFEF
	v_add3_u32 v21, v239, v24, 1                               // 000000012B20: D1FF0015 020631EF
	v_cndmask_b32_e64 v42, v21, v23, s[40:41]                  // 000000012B28: D100002A 00A22F15
	v_perm_b32 v235, v42, v41, s52                             // 000000012B30: D1ED00EB 00D2532A
	s_nop 1                                                    // 000000012B38: BF800001
	v_lshrrev_b32_e32 v41, 4, v0                               // 000000012B3C: 20520084
	v_mul_i32_i24_e32 v45, 34, v41                             // 000000012B40: 0C5A52A2
	v_and_b32_e32 v41, 15, v0                                  // 000000012B44: 2652008F
	v_mul_i32_i24_e32 v42, 2, v41                              // 000000012B48: 0C545282
	v_add_u32_e32 v45, v42, v45                                // 000000012B4C: 685A5B2A
	s_mul_i32 s60, s7, 0x88                                    // 000000012B50: 923CFF07 00000088
	v_add_u32_e32 v45, s60, v45                                // 000000012B58: 685A5A3C
	v_lshlrev_b32_e32 v45, 2, v45                              // 000000012B5C: 245A5A82
	ds_write_b64 v45, v[232:233] offset:41472                  // 000000012B60: D89AA200 0000E82D
	ds_write_b64 v45, v[234:235] offset:43648                  // 000000012B68: D89AAA80 0000EA2D
	v_lshrrev_b32_e32 v41, 1, v0                               // 000000012B70: 20520081
	v_mul_i32_i24_e32 v45, 34, v41                             // 000000012B74: 0C5A52A2
	v_and_b32_e32 v42, 1, v0                                   // 000000012B78: 26540081
	v_add_u32_e32 v45, v42, v45                                // 000000012B7C: 685A5B2A
	s_mul_i32 s60, s7, 2                                       // 000000012B80: 923C8207
	v_add_u32_e32 v45, s60, v45                                // 000000012B84: 685A5A3C
	v_lshlrev_b32_e32 v45, 2, v45                              // 000000012B88: 245A5A82
	s_waitcnt lgkmcnt(0)                                       // 000000012B8C: BF8CC07F
	s_barrier                                                  // 000000012B90: BF8A0000
	ds_read_b32 v232, v45 offset:41472                         // 000000012B94: D86CA200 E800002D
	ds_read_b32 v233, v45 offset:41504                         // 000000012B9C: D86CA220 E900002D
	s_mul_i32 s60, s7, 0x100                                   // 000000012BA4: 923CFF07 00000100
	v_lshlrev_b32_e32 v41, 2, v0                               // 000000012BAC: 24520082
	v_add_u32_e64 v41, v41, s60                                // 000000012BB0: D1340029 00007929
	s_waitcnt lgkmcnt(0)                                       // 000000012BB8: BF8CC07F
	buffer_store_dword v232, v41, s[8:11], 0 offen             // 000000012BBC: E0701000 8002E829
	buffer_store_dword v233, v41, s[8:11], 0 offen offset:1024 // 000000012BC4: E0701400 8002E929
	s_add_u32 s8, s75, s8                                      // 000000012BCC: 8008084B
	s_addc_u32 s9, 0, s9                                       // 000000012BD0: 82090980
	s_branch label_4276                                        // 000000012BD4: BF820000

0000000000012bd8 <label_4276>:
	s_waitcnt vmcnt(0) expcnt(0) lgkmcnt(0)                    // 000000012BD8: BF8C0000
	s_endpgm                                                   // 000000012BDC: BF810000
